;; amdgpu-corpus repo=ROCm/rccl kind=compiled arch=gfx1250 opt=O3
	.amdgcn_target "amdgcn-amd-amdhsa--gfx1250"
	.amdhsa_code_object_version 6
	.text
	.p2align	2                               ; -- Begin function _ZN12_GLOBAL__N_17runRingI14__hip_fp8_e4m37FuncSumIS1_E7ProtoLLLi0ELi1ELi0EEEviiP15ncclDevWorkColl
	.type	_ZN12_GLOBAL__N_17runRingI14__hip_fp8_e4m37FuncSumIS1_E7ProtoLLLi0ELi1ELi0EEEviiP15ncclDevWorkColl,@function
_ZN12_GLOBAL__N_17runRingI14__hip_fp8_e4m37FuncSumIS1_E7ProtoLLLi0ELi1ELi0EEEviiP15ncclDevWorkColl: ; @_ZN12_GLOBAL__N_17runRingI14__hip_fp8_e4m37FuncSumIS1_E7ProtoLLLi0ELi1ELi0EEEviiP15ncclDevWorkColl
; %bb.0:
	s_wait_loadcnt_dscnt 0x0
	s_wait_kmcnt 0x0
	s_clause 0x17
	scratch_store_b32 off, v40, s32 offset:92
	; meta instruction
	scratch_store_b32 off, v41, s32 offset:88
	; meta instruction
	;; [unrolled: 2-line block ×23, first 2 shown]
	scratch_store_b32 off, v79, s32
	s_trap 2
	s_clause 0x2
	flat_load_b32 v12, v[2:3]
	flat_load_b128 v[4:7], v[2:3] offset:72
	flat_load_b64 v[68:69], v[2:3] offset:88
	v_mov_b32_e32 v20, v1
	ds_load_b32 v8, v0
	ds_load_b64 v[22:23], v0
	s_mov_b32 s0, exec_lo
                                        ; implicit-def: $vgpr54_vgpr55
                                        ; implicit-def: $vgpr24_vgpr25
	s_wait_dscnt 0x1
	v_readfirstlane_b32 s10, v8
	s_wait_loadcnt 0x2
	v_bfe_u32 v9, v12, 8, 8
	v_bitop3_b32 v1, v12, 0xff, v12 bitop3:0x3f
	s_delay_alu instid0(VALU_DEP_1) | instskip(NEXT) | instid1(VALU_DEP_1)
	v_add_nc_u32_e32 v10, v9, v1
	v_ashrrev_i32_e32 v11, 31, v10
	s_wait_loadcnt 0x1
	s_delay_alu instid0(VALU_DEP_1) | instskip(SKIP_2) | instid1(VALU_DEP_1)
	v_mul_u64_e32 v[18:19], v[6:7], v[10:11]
	v_and_b32_e32 v10, 0xff, v12
	s_wait_xcnt 0x0
	v_cmpx_ne_u32_e64 v8, v10
	s_xor_b32 s0, exec_lo, s0
	s_cbranch_execz .LBB0_6
; %bb.1:
	s_mov_b32 s1, exec_lo
                                        ; implicit-def: $vgpr54_vgpr55
                                        ; implicit-def: $vgpr24_vgpr25
	v_cmpx_ne_u32_e64 v8, v9
	s_xor_b32 s1, exec_lo, s1
	s_cbranch_execz .LBB0_3
; %bb.2:
	flat_load_b64 v[10:11], v[2:3] offset:96
	v_add_nc_u32_e32 v1, v8, v1
	s_delay_alu instid0(VALU_DEP_1) | instskip(NEXT) | instid1(VALU_DEP_1)
	v_mad_nc_u64_u32 v[24:25], v6, v1, v[4:5]
	v_mad_u32 v8, v7, v1, v25
	v_ashrrev_i32_e32 v1, 31, v1
	s_delay_alu instid0(VALU_DEP_1)
	v_mad_u32 v25, v6, v1, v8
	s_wait_loadcnt_dscnt 0x0
	v_lshrrev_b64 v[54:55], 17, v[10:11]
.LBB0_3:
	s_wait_xcnt 0x0
	s_and_not1_saveexec_b32 s1, s1
	s_cbranch_execz .LBB0_5
; %bb.4:
	flat_load_b32 v1, v[2:3] offset:100
	v_add_nc_u64_e32 v[24:25], v[18:19], v[4:5]
	s_wait_loadcnt 0x1
	v_mov_b64_e32 v[6:7], v[68:69]
	s_wait_loadcnt_dscnt 0x0
	v_lshrrev_b32_e32 v54, 6, v1
.LBB0_5:
	s_wait_xcnt 0x0
	s_or_b32 exec_lo, exec_lo, s1
.LBB0_6:
	s_and_not1_saveexec_b32 s0, s0
	s_cbranch_execz .LBB0_8
; %bb.7:
	flat_load_b64 v[6:7], v[2:3] offset:96
	v_mov_b64_e32 v[24:25], 0
	s_wait_loadcnt_dscnt 0x0
	v_lshlrev_b64_e32 v[54:55], 4, v[6:7]
	v_mov_b64_e32 v[6:7], v[4:5]
.LBB0_8:
	s_wait_xcnt 0x0
	s_or_b32 exec_lo, exec_lo, s0
	s_load_b32 s0, s[8:9], 0x0
	s_clause 0x1
	flat_load_u16 v13, v[2:3] offset:8
	flat_load_b32 v12, v[2:3] offset:4
	s_bfe_u32 s1, ttmp6, 0x4000c
	s_and_b32 s2, ttmp6, 15
	s_add_co_i32 s1, s1, 1
	s_getreg_b32 s3, hwreg(HW_REG_IB_STS2, 6, 4)
	s_mul_i32 s1, ttmp9, s1
	v_mov_b32_e32 v1, 0
	s_add_co_i32 s2, s2, s1
	s_cmp_eq_u32 s3, 0
	s_mov_b32 s1, 0
	s_cselect_b32 s2, ttmp9, s2
	v_mov_b64_e32 v[26:27], 0
	s_wait_kmcnt 0x0
	s_cmp_lt_u32 s2, s0
	s_cselect_b32 s0, 12, 18
	s_delay_alu instid0(SALU_CYCLE_1)
	s_add_nc_u64 s[2:3], s[8:9], s[0:1]
	flat_load_b128 v[8:11], v[2:3] offset:16
	global_load_u16 v21, v1, s[2:3]
	s_wait_xcnt 0x0
	v_ashrrev_i32_e32 v1, 31, v0
	s_trap 2
	ds_load_b32 v2, v0
	v_lshrrev_b32_e32 v3, 27, v1
	s_delay_alu instid0(VALU_DEP_1) | instskip(NEXT) | instid1(VALU_DEP_1)
	v_add_nc_u32_e32 v3, v0, v3
	v_and_b32_e32 v3, 0xffffffe0, v3
	s_wait_dscnt 0x0
	v_cmp_gt_i32_e32 vcc_lo, 0, v2
	v_readfirstlane_b32 s2, v2
	s_and_b32 vcc_lo, exec_lo, vcc_lo
	s_wait_loadcnt 0x2
	v_lshrrev_b64 v[14:15], 31, v[12:13]
	v_sub_nc_u32_e32 v12, v0, v3
	s_delay_alu instid0(VALU_DEP_1) | instskip(NEXT) | instid1(VALU_DEP_3)
	v_cmp_eq_u32_e64 s0, 0, v12
	v_and_b32_e32 v3, 3, v14
	s_delay_alu instid0(VALU_DEP_1)
	v_and_b32_e32 v13, 0xffff, v3
	s_cbranch_vccnz .LBB0_10
; %bb.9:
	s_trap 2
	ds_load_b64 v[14:15], v0
	s_mov_b32 s1, 1
	s_wait_dscnt 0x0
	v_readfirstlane_b32 s4, v14
	v_readfirstlane_b32 s5, v15
	flat_load_b64 v[2:3], v2, s[4:5] scale_offset
	s_wait_loadcnt_dscnt 0x0
	v_mad_nc_u64_u32 v[2:3], 0xa8, v13, v[2:3]
	s_clause 0x1
	flat_load_b64 v[32:33], v[2:3] offset:504
	flat_load_b64 v[34:35], v[2:3] offset:608
	v_add_nc_u64_e32 v[28:29], 0x1f8, v[2:3]
	s_wait_xcnt 0x0
	s_delay_alu instid0(VALU_DEP_1)
	v_dual_cndmask_b32 v3, 0, v29, s0 :: v_dual_cndmask_b32 v2, 0, v28, s0
	s_branch .LBB0_11
.LBB0_10:
	v_mov_b64_e32 v[28:29], 0
	v_mov_b64_e32 v[2:3], 0
                                        ; implicit-def: $vgpr34_vgpr35
                                        ; implicit-def: $vgpr32_vgpr33
.LBB0_11:
	s_trap 2
	ds_load_b32 v14, v0
	s_wait_dscnt 0x0
	v_cmp_gt_i32_e32 vcc_lo, 0, v14
	s_cbranch_vccnz .LBB0_13
; %bb.12:
	s_trap 2
	ds_load_b64 v[16:17], v0
	v_cmp_eq_u32_e32 vcc_lo, 0, v12
	s_wait_dscnt 0x0
	v_readfirstlane_b32 s4, v16
	v_readfirstlane_b32 s5, v17
	flat_load_b64 v[14:15], v14, s[4:5] scale_offset
	s_wait_loadcnt_dscnt 0x0
	v_mad_nc_u64_u32 v[26:27], 0xa8, v13, v[14:15]
	s_clause 0x1
	flat_load_b64 v[36:37], v[26:27]
	flat_load_b64 v[16:17], v[26:27] offset:104
	v_dual_cndmask_b32 v53, 0, v27 :: v_dual_cndmask_b32 v52, 0, v26
	s_branch .LBB0_14
.LBB0_13:
	v_mov_b64_e32 v[52:53], 0
                                        ; implicit-def: $vgpr16_vgpr17
                                        ; implicit-def: $vgpr36_vgpr37
.LBB0_14:
	s_wait_xcnt 0x2
	v_subrev_nc_u32_e32 v14, 32, v20
	v_cmp_gt_i32_e32 vcc_lo, s1, v12
	v_mov_b64_e32 v[12:13], 0
	v_mov_b64_e32 v[48:49], 0
                                        ; implicit-def: $vgpr38_vgpr39
	s_delay_alu instid0(VALU_DEP_4)
	v_cmp_ge_i32_e64 s0, v0, v14
	s_and_b32 s9, s0, vcc_lo
	s_wait_xcnt 0x0
	s_and_saveexec_b32 s0, s9
	s_cbranch_execz .LBB0_16
; %bb.15:
	s_clause 0x1
	flat_load_b64 v[48:49], v[2:3] offset:56
	flat_load_b64 v[38:39], v[2:3] offset:104
.LBB0_16:
	s_wait_xcnt 0x0
	s_or_b32 exec_lo, exec_lo, s0
	v_mov_b64_e32 v[50:51], 0
	v_cmp_gt_i32_e64 s0, s1, v0
                                        ; implicit-def: $vgpr64_vgpr65
	s_and_saveexec_b32 s1, s0
	s_cbranch_execz .LBB0_18
; %bb.17:
	flat_load_b64 v[50:51], v[52:53] offset:56
	s_wait_loadcnt_dscnt 0x0
	flat_load_b64 v[64:65], v[50:51] scope:SCOPE_SYS
	s_wait_loadcnt 0x0
	flat_load_b128 v[12:15], v[52:53] offset:96
.LBB0_18:
	s_wait_xcnt 0x0
	s_or_b32 exec_lo, exec_lo, s1
	v_mov_b64_e32 v[52:53], 0
	s_wait_loadcnt 0x0
	v_and_b32_e32 v30, 0xffff, v21
	s_mov_b32 s12, exec_lo
	v_cmpx_ne_u64_e32 0, v[6:7]
	s_cbranch_execnz .LBB0_34
; %bb.19:
	s_or_b32 exec_lo, exec_lo, s12
	s_and_saveexec_b32 s1, s9
	s_cbranch_execnz .LBB0_720
.LBB0_20:
	s_or_b32 exec_lo, exec_lo, s1
	s_and_saveexec_b32 s1, s0
	s_cbranch_execz .LBB0_22
.LBB0_21:
	s_wait_dscnt 0x0
	flat_store_b64 v[26:27], v[14:15] offset:104
.LBB0_22:
	s_wait_xcnt 0x0
	s_or_b32 exec_lo, exec_lo, s1
	s_delay_alu instid0(SALU_CYCLE_1)
	s_mov_b32 s0, exec_lo
	v_cmpx_ne_u32_e32 32, v20
	s_cbranch_execz .LBB0_727
; %bb.23:
	s_mov_b32 s1, exec_lo
	v_cmpx_ne_u32_e64 v20, v30
	s_xor_b32 s1, exec_lo, s1
	s_cbranch_execz .LBB0_725
; %bb.24:
	v_and_b32_e32 v0, 31, v31
	s_mov_b32 s2, exec_lo
	s_delay_alu instid0(VALU_DEP_1)
	v_cmpx_eq_u32_e32 0, v0
	s_cbranch_execz .LBB0_724
; %bb.25:
	s_mov_b32 s4, exec_lo
	s_mov_b32 s3, exec_lo
	v_mbcnt_lo_u32_b32 v0, s4, 0
	global_wb scope:SCOPE_DEV
	s_wait_storecnt 0x0
	s_wait_loadcnt_dscnt 0x0
	global_inv scope:SCOPE_DEV
	v_cmpx_eq_u32_e32 0, v0
	s_cbranch_execz .LBB0_27
; %bb.26:
	s_bcnt1_i32_b32 s4, s4
	s_delay_alu instid0(SALU_CYCLE_1)
	v_dual_mov_b32 v1, 0 :: v_dual_mov_b32 v0, s4
	s_wait_loadcnt 0x0
	ds_add_u64 v0, v[0:1]
	s_trap 2
.LBB0_27:
	s_or_b32 exec_lo, exec_lo, s3
	s_trap 2
	ds_load_b64 v[2:3], v0
	s_wait_dscnt 0x0
	v_dual_mov_b32 v1, 0 :: v_dual_lshrrev_b32 v0, 5, v20
	s_mov_b32 s3, exec_lo
	s_delay_alu instid0(VALU_DEP_1) | instskip(NEXT) | instid1(VALU_DEP_1)
	v_add_nc_u64_e32 v[0:1], v[52:53], v[0:1]
	v_cmpx_lt_u64_e64 v[2:3], v[0:1]
	s_cbranch_execz .LBB0_723
; %bb.28:
	s_mov_b32 s4, 0
	s_mov_b32 s7, 0
                                        ; implicit-def: $sgpr5
                                        ; implicit-def: $sgpr6
	s_branch .LBB0_30
.LBB0_29:                               ;   in Loop: Header=BB0_30 Depth=1
	s_or_b32 exec_lo, exec_lo, s9
	s_delay_alu instid0(SALU_CYCLE_1) | instskip(NEXT) | instid1(SALU_CYCLE_1)
	s_and_b32 s8, exec_lo, s10
	s_or_b32 s4, s8, s4
	s_and_not1_b32 s5, s5, exec_lo
	s_and_b32 s8, s6, exec_lo
	s_delay_alu instid0(SALU_CYCLE_1)
	s_or_b32 s5, s5, s8
	s_and_not1_b32 exec_lo, exec_lo, s4
	s_cbranch_execz .LBB0_721
.LBB0_30:                               ; =>This Inner Loop Header: Depth=1
	s_add_co_i32 s7, s7, 1
	s_delay_alu instid0(SALU_CYCLE_1) | instskip(SKIP_1) | instid1(SALU_CYCLE_1)
	s_cmp_lg_u32 s7, 0x2710
	s_cselect_b32 s8, -1, 0
	s_and_b32 vcc_lo, exec_lo, s8
	s_cbranch_vccz .LBB0_32
; %bb.31:                               ;   in Loop: Header=BB0_30 Depth=1
	s_mov_b32 s10, -1
	s_or_b32 s6, s6, exec_lo
	s_and_saveexec_b32 s9, s8
	s_cbranch_execz .LBB0_29
	s_branch .LBB0_33
.LBB0_32:                               ;   in Loop: Header=BB0_30 Depth=1
	s_trap 2
	ds_load_b64 v[2:3], v0
	s_and_not1_b32 s8, s8, exec_lo
	s_mov_b32 s7, 0
	s_wait_loadcnt_dscnt 0x0
	flat_load_b32 v2, v[2:3] scope:SCOPE_SYS
	s_wait_loadcnt_dscnt 0x0
	global_inv scope:SCOPE_SYS
	v_cmp_eq_u32_e32 vcc_lo, 0, v2
	s_and_b32 s9, vcc_lo, exec_lo
	s_delay_alu instid0(SALU_CYCLE_1)
	s_or_b32 s8, s8, s9
	s_mov_b32 s10, -1
	s_or_b32 s6, s6, exec_lo
	s_and_saveexec_b32 s9, s8
	s_cbranch_execz .LBB0_29
.LBB0_33:                               ;   in Loop: Header=BB0_30 Depth=1
	s_sleep 1
	s_trap 2
	ds_load_b64 v[2:3], v0
	s_wait_dscnt 0x0
	s_and_not1_b32 s6, s6, exec_lo
	v_cmp_ge_u64_e32 vcc_lo, v[2:3], v[0:1]
	s_or_not1_b32 s10, vcc_lo, exec_lo
	s_branch .LBB0_29
.LBB0_34:
	v_add_nc_u64_e32 v[2:3], v[68:69], v[4:5]
	v_mov_b32_e32 v55, 0
	s_ashr_i32 s1, s2, 31
	s_ashr_i32 s11, s10, 31
	s_lshr_b32 s1, s1, 29
	v_mov_b64_e32 v[80:81], 0
	s_add_co_i32 s2, s2, s1
	v_add_nc_u64_e32 v[68:69], v[2:3], v[18:19]
	v_dual_mov_b32 v67, v55 :: v_dual_bitop2_b32 v2, 31, v31 bitop3:0x40
	v_lshlrev_b32_e32 v82, 3, v0
	v_dual_mov_b32 v87, v55 :: v_dual_lshrrev_b32 v84, 5, v20
	v_mov_b32_e32 v21, v55
	s_delay_alu instid0(VALU_DEP_4)
	v_cmp_eq_u32_e64 s5, 0, v2
	v_add_nc_u64_e32 v[2:3], v[24:25], v[10:11]
	v_ashrrev_i32_e32 v83, 31, v82
	s_ashr_i32 s4, s2, 3
	s_ashr_i32 s13, s2, 7
	s_lshl_b64 s[2:3], s[10:11], 2
	v_cmp_ne_u64_e64 s1, 0, v[50:51]
	v_add_nc_u64_e32 v[70:71], s[2:3], v[22:23]
	s_wait_dscnt 0x0
	v_cmp_ne_u64_e64 s2, 0, v[12:13]
	v_add_nc_u64_e32 v[96:97], v[10:11], v[82:83]
	v_cmp_ne_u64_e64 s6, 0, v[48:49]
	v_add_nc_u64_e32 v[8:9], v[8:9], v[82:83]
	v_add_nc_u64_e32 v[98:99], v[2:3], v[82:83]
	v_lshlrev_b64_e32 v[102:103], 4, v[20:21]
	v_mov_b64_e32 v[52:53], 0
	v_and_b32_e32 v66, 0x1fffff0, v54
	s_and_b32 s11, s4, -16
	v_cmp_ne_u32_e64 s3, 32, v20
	v_cmp_ne_u32_e64 s4, v20, v30
	v_dual_mov_b32 v85, v55 :: v_dual_lshlrev_b32 v86, 3, v20
	v_lshlrev_b32_e32 v56, 6, v20
	v_lshl_add_u64 v[100:101], v[0:1], 4, v[36:37]
	v_dual_mov_b32 v1, 1 :: v_dual_mov_b32 v21, 0
	s_cmp_gt_i32 s10, 2
	s_mov_b32 s14, 0
	s_cselect_b32 s15, -1, 0
	s_branch .LBB0_36
.LBB0_35:                               ;   in Loop: Header=BB0_36 Depth=1
	s_wait_xcnt 0x0
	s_or_b32 exec_lo, exec_lo, s7
	v_add_nc_u64_e32 v[80:81], v[80:81], v[66:67]
	v_add_nc_u64_e32 v[34:35], 1, v[34:35]
	;; [unrolled: 1-line block ×3, first 2 shown]
	s_delay_alu instid0(VALU_DEP_3) | instskip(SKIP_1) | instid1(SALU_CYCLE_1)
	v_cmp_ge_u64_e32 vcc_lo, v[80:81], v[6:7]
	s_or_b32 s14, vcc_lo, s14
	s_and_not1_b32 exec_lo, exec_lo, s14
	s_cbranch_execz .LBB0_719
.LBB0_36:                               ; =>This Loop Header: Depth=1
                                        ;     Child Loop BB0_41 Depth 2
                                        ;     Child Loop BB0_60 Depth 2
	;; [unrolled: 1-line block ×5, first 2 shown]
                                        ;       Child Loop BB0_90 Depth 3
                                        ;       Child Loop BB0_109 Depth 3
	;; [unrolled: 1-line block ×3, first 2 shown]
                                        ;         Child Loop BB0_137 Depth 4
                                        ;       Child Loop BB0_401 Depth 3
                                        ;       Child Loop BB0_126 Depth 3
                                        ;     Child Loop BB0_417 Depth 2
                                        ;       Child Loop BB0_425 Depth 3
                                        ;     Child Loop BB0_707 Depth 2
	s_wait_loadcnt_dscnt 0x0
	flat_load_b32 v19, v[70:71] offset:-4
	v_sub_nc_u64_e32 v[2:3], v[6:7], v[80:81]
	s_delay_alu instid0(VALU_DEP_1) | instskip(NEXT) | instid1(VALU_DEP_1)
	v_min_u64 v[2:3], v[66:67], v[2:3]
	v_lshl_add_u32 v3, v2, 1, 14
	s_delay_alu instid0(VALU_DEP_1)
	v_and_b32_e32 v58, 0x7fffff0, v3
	s_wait_xcnt 0x0
	s_and_saveexec_b32 s8, s1
	s_cbranch_execz .LBB0_52
; %bb.37:                               ;   in Loop: Header=BB0_36 Depth=1
	v_add_nc_u64_e32 v[4:5], 1, v[14:15]
	v_add_nc_u64_e32 v[112:113], 8, v[64:65]
	s_mov_b32 s16, exec_lo
	s_delay_alu instid0(VALU_DEP_1)
	v_cmpx_lt_u64_e64 v[112:113], v[4:5]
	s_cbranch_execz .LBB0_49
; %bb.38:                               ;   in Loop: Header=BB0_36 Depth=1
	s_mov_b32 s17, 0
	s_mov_b32 s21, 0
	v_cmp_eq_u32_e32 vcc_lo, 0, v21
                                        ; implicit-def: $sgpr18
                                        ; implicit-def: $sgpr19
                                        ; implicit-def: $sgpr20
	s_branch .LBB0_41
.LBB0_39:                               ;   in Loop: Header=BB0_41 Depth=2
	s_or_b32 exec_lo, exec_lo, s26
	v_mov_b32_e32 v15, 0
	s_and_not1_b32 s7, s20, exec_lo
	s_and_b32 s20, s24, exec_lo
	s_and_not1_b32 s19, s19, exec_lo
	s_and_b32 s23, s23, exec_lo
	s_or_b32 s20, s7, s20
	s_or_b32 s19, s19, s23
.LBB0_40:                               ;   in Loop: Header=BB0_41 Depth=2
	s_or_b32 exec_lo, exec_lo, s22
	s_delay_alu instid0(SALU_CYCLE_1) | instskip(NEXT) | instid1(SALU_CYCLE_1)
	s_and_b32 s7, exec_lo, s19
	s_or_b32 s17, s7, s17
	s_and_not1_b32 s7, s18, exec_lo
	s_and_b32 s18, s20, exec_lo
	s_delay_alu instid0(SALU_CYCLE_1)
	s_or_b32 s18, s7, s18
	s_and_not1_b32 exec_lo, exec_lo, s17
	s_cbranch_execz .LBB0_46
.LBB0_41:                               ;   Parent Loop BB0_36 Depth=1
                                        ; =>  This Inner Loop Header: Depth=2
	s_sleep 1
	s_wait_loadcnt_dscnt 0x0
	flat_load_b64 v[64:65], v[50:51] scope:SCOPE_DEV
	v_mov_b32_e32 v15, v21
	s_or_b32 s20, s20, exec_lo
	s_or_b32 s19, s19, exec_lo
                                        ; implicit-def: $vgpr3
	s_wait_xcnt 0x0
	s_and_saveexec_b32 s22, vcc_lo
	s_cbranch_execz .LBB0_40
; %bb.42:                               ;   in Loop: Header=BB0_41 Depth=2
	s_add_co_i32 s21, s21, 1
	s_mov_b32 s23, -1
	s_cmp_lg_u32 s21, 0x2710
	s_mov_b32 s24, -1
	s_cselect_b32 s25, -1, 0
	s_cmp_eq_u32 s21, 0x2710
                                        ; implicit-def: $vgpr3
	s_cbranch_scc1 .LBB0_44
; %bb.43:                               ;   in Loop: Header=BB0_41 Depth=2
	s_and_saveexec_b32 s26, s25
	s_cbranch_execz .LBB0_39
	s_branch .LBB0_45
.LBB0_44:                               ;   in Loop: Header=BB0_41 Depth=2
	s_trap 2
	ds_load_b64 v[112:113], v0
	s_and_not1_b32 s21, s25, exec_lo
	s_mov_b32 s24, 0
	s_wait_storecnt 0x0
	s_wait_loadcnt_dscnt 0x0
	flat_load_b32 v3, v[112:113] scope:SCOPE_SYS
	s_wait_loadcnt_dscnt 0x0
	global_inv scope:SCOPE_SYS
	v_cmp_eq_u32_e64 s7, 0, v3
	s_and_b32 s7, s7, exec_lo
	s_delay_alu instid0(SALU_CYCLE_1)
	s_or_b32 s25, s21, s7
	s_mov_b32 s21, 0
	s_and_saveexec_b32 s26, s25
	s_cbranch_execz .LBB0_39
.LBB0_45:                               ;   in Loop: Header=BB0_41 Depth=2
	s_wait_loadcnt_dscnt 0x0
	v_add_nc_u64_e32 v[112:113], 8, v[64:65]
	s_or_b32 s24, s24, exec_lo
	s_delay_alu instid0(VALU_DEP_1)
	v_cmp_ge_u64_e64 s7, v[112:113], v[4:5]
	s_or_not1_b32 s23, s7, exec_lo
	s_branch .LBB0_39
.LBB0_46:                               ;   in Loop: Header=BB0_36 Depth=1
	s_or_b32 exec_lo, exec_lo, s17
	s_xor_b32 s7, s18, -1
	s_delay_alu instid0(SALU_CYCLE_1) | instskip(NEXT) | instid1(SALU_CYCLE_1)
	s_and_saveexec_b32 s17, s7
	s_xor_b32 s7, exec_lo, s17
	s_cbranch_execz .LBB0_48
; %bb.47:                               ;   in Loop: Header=BB0_36 Depth=1
	v_mov_b32_e32 v15, 1
	s_wait_storecnt 0x0
	s_wait_loadcnt_dscnt 0x0
	ds_store_b32 v0, v3
	s_trap 2
.LBB0_48:                               ;   in Loop: Header=BB0_36 Depth=1
	s_or_b32 exec_lo, exec_lo, s7
	v_mov_b32_e32 v21, v15
.LBB0_49:                               ;   in Loop: Header=BB0_36 Depth=1
	s_or_b32 exec_lo, exec_lo, s16
	s_and_saveexec_b32 s7, s2
	s_cbranch_execz .LBB0_51
; %bb.50:                               ;   in Loop: Header=BB0_36 Depth=1
	v_and_b32_e32 v54, 0x7ffffff8, v14
	s_delay_alu instid0(VALU_DEP_1) | instskip(SKIP_1) | instid1(VALU_DEP_1)
	v_cmp_eq_u64_e32 vcc_lo, 0x7ffffff8, v[54:55]
	v_cndmask_b32_e64 v112, v58, s11, vcc_lo
	v_dual_ashrrev_i32 v113, 31, v112 :: v_dual_bitop2_b32 v3, 7, v14 bitop3:0x40
	s_delay_alu instid0(VALU_DEP_1)
	v_mad_nc_u64_u32 v[14:15], v3, 24, v[12:13]
	flat_store_b64 v[14:15], v[112:113] offset:8 scope:SCOPE_SYS
	s_wait_storecnt 0x0
.LBB0_51:                               ;   in Loop: Header=BB0_36 Depth=1
	s_wait_xcnt 0x0
	s_or_b32 exec_lo, exec_lo, s7
	v_mov_b64_e32 v[14:15], v[4:5]
.LBB0_52:                               ;   in Loop: Header=BB0_36 Depth=1
	s_or_b32 exec_lo, exec_lo, s8
	s_and_saveexec_b32 s7, s3
	s_cbranch_execz .LBB0_71
; %bb.53:                               ;   in Loop: Header=BB0_36 Depth=1
	s_and_saveexec_b32 s8, s4
	s_delay_alu instid0(SALU_CYCLE_1)
	s_xor_b32 s8, exec_lo, s8
	s_cbranch_execz .LBB0_68
; %bb.54:                               ;   in Loop: Header=BB0_36 Depth=1
	s_and_saveexec_b32 s16, s5
	s_cbranch_execz .LBB0_67
; %bb.55:                               ;   in Loop: Header=BB0_36 Depth=1
	s_mov_b32 s18, exec_lo
	s_mov_b32 s17, exec_lo
	v_mbcnt_lo_u32_b32 v3, s18, 0
	global_wb scope:SCOPE_DEV
	s_wait_storecnt 0x0
	s_wait_loadcnt_dscnt 0x0
	global_inv scope:SCOPE_DEV
	v_cmpx_eq_u32_e32 0, v3
	s_cbranch_execz .LBB0_57
; %bb.56:                               ;   in Loop: Header=BB0_36 Depth=1
	s_bcnt1_i32_b32 s18, s18
	s_delay_alu instid0(SALU_CYCLE_1)
	v_mov_b32_e32 v54, s18
	s_wait_loadcnt 0x0
	ds_add_u64 v0, v[54:55]
	s_trap 2
.LBB0_57:                               ;   in Loop: Header=BB0_36 Depth=1
	s_or_b32 exec_lo, exec_lo, s17
	s_trap 2
	ds_load_b64 v[4:5], v0
	s_wait_dscnt 0x0
	v_add_nc_u64_e32 v[52:53], v[52:53], v[84:85]
	s_mov_b32 s17, exec_lo
	s_delay_alu instid0(VALU_DEP_1)
	v_cmpx_lt_u64_e64 v[4:5], v[52:53]
	s_cbranch_execz .LBB0_66
; %bb.58:                               ;   in Loop: Header=BB0_36 Depth=1
	s_mov_b32 s18, 0
	s_mov_b32 s21, 0
                                        ; implicit-def: $sgpr19
                                        ; implicit-def: $sgpr20
	s_branch .LBB0_60
.LBB0_59:                               ;   in Loop: Header=BB0_60 Depth=2
	s_or_b32 exec_lo, exec_lo, s23
	s_delay_alu instid0(SALU_CYCLE_1) | instskip(NEXT) | instid1(SALU_CYCLE_1)
	s_and_b32 s22, exec_lo, s24
	s_or_b32 s18, s22, s18
	s_and_not1_b32 s19, s19, exec_lo
	s_and_b32 s22, s20, exec_lo
	s_delay_alu instid0(SALU_CYCLE_1)
	s_or_b32 s19, s19, s22
	s_and_not1_b32 exec_lo, exec_lo, s18
	s_cbranch_execz .LBB0_64
.LBB0_60:                               ;   Parent Loop BB0_36 Depth=1
                                        ; =>  This Inner Loop Header: Depth=2
	s_add_co_i32 s21, s21, 1
	s_delay_alu instid0(SALU_CYCLE_1) | instskip(SKIP_1) | instid1(SALU_CYCLE_1)
	s_cmp_lg_u32 s21, 0x2710
	s_cselect_b32 s22, -1, 0
	s_and_b32 vcc_lo, exec_lo, s22
	s_cbranch_vccz .LBB0_62
; %bb.61:                               ;   in Loop: Header=BB0_60 Depth=2
	s_mov_b32 s24, -1
	s_or_b32 s20, s20, exec_lo
	s_and_saveexec_b32 s23, s22
	s_cbranch_execz .LBB0_59
	s_branch .LBB0_63
.LBB0_62:                               ;   in Loop: Header=BB0_60 Depth=2
	s_trap 2
	ds_load_b64 v[4:5], v0
	s_and_not1_b32 s22, s22, exec_lo
	s_mov_b32 s21, 0
	s_wait_loadcnt_dscnt 0x0
	flat_load_b32 v3, v[4:5] scope:SCOPE_SYS
	s_wait_loadcnt_dscnt 0x0
	global_inv scope:SCOPE_SYS
	v_cmp_eq_u32_e32 vcc_lo, 0, v3
	s_and_b32 s23, vcc_lo, exec_lo
	s_delay_alu instid0(SALU_CYCLE_1)
	s_or_b32 s22, s22, s23
	s_mov_b32 s24, -1
	s_or_b32 s20, s20, exec_lo
	s_and_saveexec_b32 s23, s22
	s_cbranch_execz .LBB0_59
.LBB0_63:                               ;   in Loop: Header=BB0_60 Depth=2
	s_sleep 1
	s_trap 2
	ds_load_b64 v[4:5], v0
	s_wait_dscnt 0x0
	s_and_not1_b32 s20, s20, exec_lo
	v_cmp_ge_u64_e32 vcc_lo, v[4:5], v[52:53]
	s_or_not1_b32 s24, vcc_lo, exec_lo
	s_branch .LBB0_59
.LBB0_64:                               ;   in Loop: Header=BB0_36 Depth=1
	s_or_b32 exec_lo, exec_lo, s18
	s_and_saveexec_b32 s18, s19
	s_delay_alu instid0(SALU_CYCLE_1)
	s_xor_b32 s18, exec_lo, s18
	s_cbranch_execz .LBB0_66
; %bb.65:                               ;   in Loop: Header=BB0_36 Depth=1
	ds_store_b32 v0, v1
	s_trap 2
.LBB0_66:                               ;   in Loop: Header=BB0_36 Depth=1
	s_or_b32 exec_lo, exec_lo, s17
	;;#ASMSTART
	s_wakeup
	;;#ASMEND
.LBB0_67:                               ;   in Loop: Header=BB0_36 Depth=1
	s_or_b32 exec_lo, exec_lo, s16
.LBB0_68:                               ;   in Loop: Header=BB0_36 Depth=1
	s_and_not1_saveexec_b32 s8, s8
	s_cbranch_execz .LBB0_70
; %bb.69:                               ;   in Loop: Header=BB0_36 Depth=1
	global_wb scope:SCOPE_DEV
	s_wait_storecnt 0x0
	s_wait_loadcnt_dscnt 0x0
	global_inv scope:SCOPE_DEV
	s_barrier_signal -1
	s_barrier_wait -1
.LBB0_70:                               ;   in Loop: Header=BB0_36 Depth=1
	s_or_b32 exec_lo, exec_lo, s8
.LBB0_71:                               ;   in Loop: Header=BB0_36 Depth=1
	s_delay_alu instid0(SALU_CYCLE_1) | instskip(SKIP_2) | instid1(VALU_DEP_2)
	s_or_b32 exec_lo, exec_lo, s7
	v_dual_sub_nc_u32 v57, v2, v82 :: v_dual_bitop2_b32 v116, 7, v16 bitop3:0x40
	v_dual_mov_b32 v18, v0 :: v_dual_add_nc_u32 v3, 1, v16
	v_cmp_lt_i32_e64 s7, 0, v57
	s_and_saveexec_b32 s8, s7
	s_cbranch_execz .LBB0_79
; %bb.72:                               ;   in Loop: Header=BB0_36 Depth=1
	s_wait_loadcnt_dscnt 0x0
	v_mad_nc_u64_u32 v[112:113], v68, v19, v[98:99]
	v_mul_lo_u32 v4, v116, s13
	v_mul_lo_u32 v18, v68, v19
	v_mov_b32_e32 v117, v57
	s_mov_b32 s16, 0
	s_delay_alu instid0(VALU_DEP_4) | instskip(NEXT) | instid1(VALU_DEP_4)
	v_mad_u32 v2, v69, v19, v113
	v_dual_ashrrev_i32 v19, 31, v19 :: v_dual_ashrrev_i32 v5, 31, v4
	s_delay_alu instid0(VALU_DEP_1) | instskip(NEXT) | instid1(VALU_DEP_2)
	v_lshl_add_u64 v[114:115], v[4:5], 4, v[100:101]
	v_mad_u32 v113, v68, v19, v2
	v_add_lshl_u32 v19, v98, v18, 3
	v_mov_b32_e32 v18, v0
	s_branch .LBB0_74
.LBB0_73:                               ;   in Loop: Header=BB0_74 Depth=2
	s_wait_xcnt 0x0
	s_or_b32 exec_lo, exec_lo, s17
	s_wait_loadcnt 0x0
	v_alignbit_b32 v2, v119, v2, v19
	v_alignbit_b32 v4, v118, v119, v19
	v_dual_mov_b32 v5, v3 :: v_dual_sub_nc_u32 v117, v117, v86
	v_add_nc_u64_e32 v[112:113], v[112:113], v[86:87]
	v_add_nc_u32_e32 v18, v18, v20
	v_add_nc_u32_e32 v19, v19, v56
	global_store_b128 v[114:115], v[2:5], off
	v_cmp_gt_i32_e32 vcc_lo, 1, v117
	s_wait_xcnt 0x0
	v_add_nc_u64_e32 v[114:115], v[114:115], v[102:103]
	s_or_b32 s16, vcc_lo, s16
	s_delay_alu instid0(SALU_CYCLE_1)
	s_and_not1_b32 exec_lo, exec_lo, s16
	s_cbranch_execz .LBB0_78
.LBB0_74:                               ;   Parent Loop BB0_36 Depth=1
                                        ; =>  This Inner Loop Header: Depth=2
	s_delay_alu instid0(VALU_DEP_3)
	v_dual_mov_b32 v5, v113 :: v_dual_bitop2_b32 v4, -4, v112 bitop3:0x40
	v_min_u32_e32 v54, 8, v117
	v_dual_mov_b32 v119, 0 :: v_dual_bitop2_b32 v118, 3, v112 bitop3:0x40
	s_mov_b32 s17, exec_lo
	global_load_b32 v2, v[4:5], off th:TH_LOAD_NT
	v_dual_add_nc_u32 v54, v118, v54 :: v_dual_mov_b32 v118, 0
	s_wait_xcnt 0x0
	s_delay_alu instid0(VALU_DEP_1)
	v_cmpx_lt_u32_e32 4, v54
	s_cbranch_execz .LBB0_76
; %bb.75:                               ;   in Loop: Header=BB0_74 Depth=2
	global_load_b32 v119, v[4:5], off offset:4 th:TH_LOAD_NT
.LBB0_76:                               ;   in Loop: Header=BB0_74 Depth=2
	s_wait_xcnt 0x0
	s_or_b32 exec_lo, exec_lo, s17
	s_delay_alu instid0(SALU_CYCLE_1)
	s_mov_b32 s17, exec_lo
	v_cmpx_lt_u64_e32 8, v[54:55]
	s_cbranch_execz .LBB0_73
; %bb.77:                               ;   in Loop: Header=BB0_74 Depth=2
	global_load_b32 v118, v[4:5], off offset:8 th:TH_LOAD_NT
	s_branch .LBB0_73
.LBB0_78:                               ;   in Loop: Header=BB0_36 Depth=1
	s_or_b32 exec_lo, exec_lo, s16
.LBB0_79:                               ;   in Loop: Header=BB0_36 Depth=1
	s_delay_alu instid0(SALU_CYCLE_1) | instskip(SKIP_2) | instid1(VALU_DEP_2)
	s_or_b32 exec_lo, exec_lo, s8
	v_and_b32_e32 v54, 0x7ffffff8, v16
	v_cmp_gt_i32_e64 s8, s13, v18
	v_cmp_eq_u64_e32 vcc_lo, 0x7ffffff8, v[54:55]
	s_and_b32 s16, vcc_lo, s8
	s_delay_alu instid0(SALU_CYCLE_1)
	s_and_saveexec_b32 s8, s16
	s_cbranch_execz .LBB0_82
; %bb.80:                               ;   in Loop: Header=BB0_36 Depth=1
	v_mul_lo_u32 v4, v116, s13
	v_mov_b32_e32 v2, v55
	s_mov_b32 s16, 0
	s_wait_loadcnt_dscnt 0x0
	s_delay_alu instid0(VALU_DEP_2) | instskip(NEXT) | instid1(VALU_DEP_1)
	v_dual_ashrrev_i32 v19, 31, v18 :: v_dual_ashrrev_i32 v5, 31, v4
	v_lshlrev_b64_e32 v[4:5], 4, v[4:5]
	s_delay_alu instid0(VALU_DEP_1) | instskip(NEXT) | instid1(VALU_DEP_1)
	v_lshl_add_u64 v[4:5], v[18:19], 4, v[4:5]
	v_add_nc_u64_e32 v[112:113], v[36:37], v[4:5]
.LBB0_81:                               ;   Parent Loop BB0_36 Depth=1
                                        ; =>  This Inner Loop Header: Depth=2
	v_dual_mov_b32 v4, v2 :: v_dual_mov_b32 v5, v3
	v_add_nc_u32_e32 v18, v18, v20
	global_store_b128 v[112:113], v[2:5], off
	v_cmp_le_i32_e32 vcc_lo, s13, v18
	s_wait_xcnt 0x0
	v_add_nc_u64_e32 v[112:113], v[112:113], v[102:103]
	s_or_b32 s16, vcc_lo, s16
	s_delay_alu instid0(SALU_CYCLE_1)
	s_and_not1_b32 exec_lo, exec_lo, s16
	s_cbranch_execnz .LBB0_81
.LBB0_82:                               ;   in Loop: Header=BB0_36 Depth=1
	s_or_b32 exec_lo, exec_lo, s8
	v_add_nc_u64_e32 v[112:113], v[80:81], v[24:25]
	v_add_nc_u64_e32 v[114:115], 1, v[16:17]
	s_and_not1_b32 vcc_lo, exec_lo, s15
	s_cbranch_vccnz .LBB0_412
; %bb.83:                               ;   in Loop: Header=BB0_36 Depth=1
	s_delay_alu instid0(VALU_DEP_2)
	v_add_nc_u64_e32 v[116:117], v[96:97], v[112:113]
	v_add_nc_u16 v59, v16, 1
	s_mov_b32 s16, 2
	s_branch .LBB0_85
.LBB0_84:                               ;   in Loop: Header=BB0_85 Depth=2
	s_or_b32 exec_lo, exec_lo, s8
	v_add_nc_u64_e32 v[34:35], 1, v[34:35]
	v_add_nc_u64_e32 v[114:115], 1, v[114:115]
	v_add_nc_u16 v59, v59, 1
	s_add_co_i32 s16, s16, 1
	s_delay_alu instid0(SALU_CYCLE_1)
	s_cmp_eq_u32 s16, s10
	s_cbranch_scc1 .LBB0_412
.LBB0_85:                               ;   Parent Loop BB0_36 Depth=1
                                        ; =>  This Loop Header: Depth=2
                                        ;       Child Loop BB0_90 Depth 3
                                        ;       Child Loop BB0_109 Depth 3
	;; [unrolled: 1-line block ×3, first 2 shown]
                                        ;         Child Loop BB0_137 Depth 4
                                        ;       Child Loop BB0_401 Depth 3
                                        ;       Child Loop BB0_126 Depth 3
	s_sub_co_i32 s8, s10, s16
	v_readfirstlane_b32 s18, v22
	v_mov_b32_e32 v2, s8
	v_readfirstlane_b32 s19, v23
	s_wait_loadcnt_dscnt 0x0
	flat_load_b32 v4, v2, s[18:19] scale_offset
	s_wait_xcnt 0x0
	s_and_saveexec_b32 s17, s1
	s_cbranch_execz .LBB0_101
; %bb.86:                               ;   in Loop: Header=BB0_85 Depth=2
	v_add_nc_u64_e32 v[2:3], 1, v[14:15]
	s_wait_loadcnt_dscnt 0x101
	v_add_nc_u64_e32 v[16:17], 8, v[64:65]
	s_mov_b32 s18, exec_lo
	s_delay_alu instid0(VALU_DEP_1)
	v_cmpx_lt_u64_e64 v[16:17], v[2:3]
	s_cbranch_execz .LBB0_98
; %bb.87:                               ;   in Loop: Header=BB0_85 Depth=2
	s_mov_b32 s19, 0
	s_mov_b32 s23, 0
	v_cmp_eq_u32_e32 vcc_lo, 0, v21
                                        ; implicit-def: $sgpr20
                                        ; implicit-def: $sgpr21
                                        ; implicit-def: $sgpr22
	s_branch .LBB0_90
.LBB0_88:                               ;   in Loop: Header=BB0_90 Depth=3
	s_or_b32 exec_lo, exec_lo, s28
	v_mov_b32_e32 v15, 0
	s_and_not1_b32 s8, s22, exec_lo
	s_and_b32 s22, s26, exec_lo
	s_and_not1_b32 s21, s21, exec_lo
	s_and_b32 s25, s25, exec_lo
	s_or_b32 s22, s8, s22
	s_or_b32 s21, s21, s25
.LBB0_89:                               ;   in Loop: Header=BB0_90 Depth=3
	s_or_b32 exec_lo, exec_lo, s24
	s_delay_alu instid0(SALU_CYCLE_1) | instskip(NEXT) | instid1(SALU_CYCLE_1)
	s_and_b32 s8, exec_lo, s21
	s_or_b32 s19, s8, s19
	s_and_not1_b32 s8, s20, exec_lo
	s_and_b32 s20, s22, exec_lo
	s_delay_alu instid0(SALU_CYCLE_1)
	s_or_b32 s20, s8, s20
	s_and_not1_b32 exec_lo, exec_lo, s19
	s_cbranch_execz .LBB0_95
.LBB0_90:                               ;   Parent Loop BB0_36 Depth=1
                                        ;     Parent Loop BB0_85 Depth=2
                                        ; =>    This Inner Loop Header: Depth=3
	s_sleep 1
	s_wait_loadcnt_dscnt 0x0
	flat_load_b64 v[64:65], v[50:51] scope:SCOPE_DEV
	v_mov_b32_e32 v15, v21
	s_or_b32 s22, s22, exec_lo
	s_or_b32 s21, s21, exec_lo
                                        ; implicit-def: $vgpr5
	s_wait_xcnt 0x0
	s_and_saveexec_b32 s24, vcc_lo
	s_cbranch_execz .LBB0_89
; %bb.91:                               ;   in Loop: Header=BB0_90 Depth=3
	s_add_co_i32 s23, s23, 1
	s_mov_b32 s25, -1
	s_cmp_lg_u32 s23, 0x2710
	s_mov_b32 s26, -1
	s_cselect_b32 s27, -1, 0
	s_cmp_eq_u32 s23, 0x2710
                                        ; implicit-def: $vgpr5
	s_cbranch_scc1 .LBB0_93
; %bb.92:                               ;   in Loop: Header=BB0_90 Depth=3
	s_and_saveexec_b32 s28, s27
	s_cbranch_execz .LBB0_88
	s_branch .LBB0_94
.LBB0_93:                               ;   in Loop: Header=BB0_90 Depth=3
	s_trap 2
	ds_load_b64 v[16:17], v0
	s_and_not1_b32 s23, s27, exec_lo
	s_mov_b32 s26, 0
	s_wait_storecnt 0x0
	s_wait_loadcnt_dscnt 0x0
	flat_load_b32 v5, v[16:17] scope:SCOPE_SYS
	s_wait_loadcnt_dscnt 0x0
	global_inv scope:SCOPE_SYS
	v_cmp_eq_u32_e64 s8, 0, v5
	s_and_b32 s8, s8, exec_lo
	s_delay_alu instid0(SALU_CYCLE_1)
	s_or_b32 s27, s23, s8
	s_mov_b32 s23, 0
	s_and_saveexec_b32 s28, s27
	s_cbranch_execz .LBB0_88
.LBB0_94:                               ;   in Loop: Header=BB0_90 Depth=3
	s_wait_loadcnt_dscnt 0x0
	v_add_nc_u64_e32 v[16:17], 8, v[64:65]
	s_or_b32 s26, s26, exec_lo
	s_delay_alu instid0(VALU_DEP_1)
	v_cmp_ge_u64_e64 s8, v[16:17], v[2:3]
	s_or_not1_b32 s25, s8, exec_lo
	s_branch .LBB0_88
.LBB0_95:                               ;   in Loop: Header=BB0_85 Depth=2
	s_or_b32 exec_lo, exec_lo, s19
	s_xor_b32 s8, s20, -1
	s_delay_alu instid0(SALU_CYCLE_1) | instskip(NEXT) | instid1(SALU_CYCLE_1)
	s_and_saveexec_b32 s19, s8
	s_xor_b32 s8, exec_lo, s19
	s_cbranch_execz .LBB0_97
; %bb.96:                               ;   in Loop: Header=BB0_85 Depth=2
	v_mov_b32_e32 v15, 1
	s_wait_storecnt 0x0
	s_wait_loadcnt_dscnt 0x0
	ds_store_b32 v0, v5
	s_trap 2
.LBB0_97:                               ;   in Loop: Header=BB0_85 Depth=2
	s_or_b32 exec_lo, exec_lo, s8
	v_mov_b32_e32 v21, v15
.LBB0_98:                               ;   in Loop: Header=BB0_85 Depth=2
	s_or_b32 exec_lo, exec_lo, s18
	s_and_saveexec_b32 s8, s2
	s_cbranch_execz .LBB0_100
; %bb.99:                               ;   in Loop: Header=BB0_85 Depth=2
	v_and_b32_e32 v54, 0x7ffffff8, v14
	s_delay_alu instid0(VALU_DEP_1) | instskip(SKIP_1) | instid1(VALU_DEP_1)
	v_cmp_eq_u64_e32 vcc_lo, 0x7ffffff8, v[54:55]
	v_cndmask_b32_e64 v16, v58, s11, vcc_lo
	v_dual_ashrrev_i32 v17, 31, v16 :: v_dual_bitop2_b32 v5, 7, v14 bitop3:0x40
	s_delay_alu instid0(VALU_DEP_1)
	v_mad_nc_u64_u32 v[14:15], v5, 24, v[12:13]
	flat_store_b64 v[14:15], v[16:17] offset:8 scope:SCOPE_SYS
	s_wait_storecnt 0x0
.LBB0_100:                              ;   in Loop: Header=BB0_85 Depth=2
	s_wait_xcnt 0x0
	s_or_b32 exec_lo, exec_lo, s8
	v_mov_b64_e32 v[14:15], v[2:3]
.LBB0_101:                              ;   in Loop: Header=BB0_85 Depth=2
	s_or_b32 exec_lo, exec_lo, s17
	s_and_saveexec_b32 s8, s3
	s_cbranch_execz .LBB0_120
; %bb.102:                              ;   in Loop: Header=BB0_85 Depth=2
	s_and_saveexec_b32 s17, s4
	s_delay_alu instid0(SALU_CYCLE_1)
	s_xor_b32 s17, exec_lo, s17
	s_cbranch_execz .LBB0_117
; %bb.103:                              ;   in Loop: Header=BB0_85 Depth=2
	s_and_saveexec_b32 s18, s5
	s_cbranch_execz .LBB0_116
; %bb.104:                              ;   in Loop: Header=BB0_85 Depth=2
	s_mov_b32 s20, exec_lo
	s_mov_b32 s19, exec_lo
	v_mbcnt_lo_u32_b32 v2, s20, 0
	global_wb scope:SCOPE_DEV
	s_wait_storecnt 0x0
	s_wait_loadcnt_dscnt 0x0
	global_inv scope:SCOPE_DEV
	v_cmpx_eq_u32_e32 0, v2
	s_cbranch_execz .LBB0_106
; %bb.105:                              ;   in Loop: Header=BB0_85 Depth=2
	s_bcnt1_i32_b32 s20, s20
	s_delay_alu instid0(SALU_CYCLE_1)
	v_mov_b32_e32 v54, s20
	s_wait_loadcnt 0x0
	ds_add_u64 v0, v[54:55]
	s_trap 2
.LBB0_106:                              ;   in Loop: Header=BB0_85 Depth=2
	s_or_b32 exec_lo, exec_lo, s19
	s_trap 2
	ds_load_b64 v[2:3], v0
	s_wait_dscnt 0x0
	v_add_nc_u64_e32 v[52:53], v[52:53], v[84:85]
	s_mov_b32 s19, exec_lo
	s_delay_alu instid0(VALU_DEP_1)
	v_cmpx_lt_u64_e64 v[2:3], v[52:53]
	s_cbranch_execz .LBB0_115
; %bb.107:                              ;   in Loop: Header=BB0_85 Depth=2
	s_mov_b32 s20, 0
	s_mov_b32 s23, 0
                                        ; implicit-def: $sgpr21
                                        ; implicit-def: $sgpr22
	s_branch .LBB0_109
.LBB0_108:                              ;   in Loop: Header=BB0_109 Depth=3
	s_or_b32 exec_lo, exec_lo, s25
	s_delay_alu instid0(SALU_CYCLE_1) | instskip(NEXT) | instid1(SALU_CYCLE_1)
	s_and_b32 s24, exec_lo, s26
	s_or_b32 s20, s24, s20
	s_and_not1_b32 s21, s21, exec_lo
	s_and_b32 s24, s22, exec_lo
	s_delay_alu instid0(SALU_CYCLE_1)
	s_or_b32 s21, s21, s24
	s_and_not1_b32 exec_lo, exec_lo, s20
	s_cbranch_execz .LBB0_113
.LBB0_109:                              ;   Parent Loop BB0_36 Depth=1
                                        ;     Parent Loop BB0_85 Depth=2
                                        ; =>    This Inner Loop Header: Depth=3
	s_add_co_i32 s23, s23, 1
	s_delay_alu instid0(SALU_CYCLE_1) | instskip(SKIP_1) | instid1(SALU_CYCLE_1)
	s_cmp_lg_u32 s23, 0x2710
	s_cselect_b32 s24, -1, 0
	s_and_b32 vcc_lo, exec_lo, s24
	s_cbranch_vccz .LBB0_111
; %bb.110:                              ;   in Loop: Header=BB0_109 Depth=3
	s_mov_b32 s26, -1
	s_or_b32 s22, s22, exec_lo
	s_and_saveexec_b32 s25, s24
	s_cbranch_execz .LBB0_108
	s_branch .LBB0_112
.LBB0_111:                              ;   in Loop: Header=BB0_109 Depth=3
	s_trap 2
	ds_load_b64 v[2:3], v0
	s_and_not1_b32 s24, s24, exec_lo
	s_mov_b32 s23, 0
	s_wait_loadcnt_dscnt 0x0
	flat_load_b32 v2, v[2:3] scope:SCOPE_SYS
	s_wait_loadcnt_dscnt 0x0
	global_inv scope:SCOPE_SYS
	v_cmp_eq_u32_e32 vcc_lo, 0, v2
	s_and_b32 s25, vcc_lo, exec_lo
	s_delay_alu instid0(SALU_CYCLE_1)
	s_or_b32 s24, s24, s25
	s_mov_b32 s26, -1
	s_or_b32 s22, s22, exec_lo
	s_and_saveexec_b32 s25, s24
	s_cbranch_execz .LBB0_108
.LBB0_112:                              ;   in Loop: Header=BB0_109 Depth=3
	s_sleep 1
	s_trap 2
	ds_load_b64 v[2:3], v0
	s_wait_dscnt 0x0
	s_and_not1_b32 s22, s22, exec_lo
	v_cmp_ge_u64_e32 vcc_lo, v[2:3], v[52:53]
	s_or_not1_b32 s26, vcc_lo, exec_lo
	s_branch .LBB0_108
.LBB0_113:                              ;   in Loop: Header=BB0_85 Depth=2
	s_or_b32 exec_lo, exec_lo, s20
	s_and_saveexec_b32 s20, s21
	s_delay_alu instid0(SALU_CYCLE_1)
	s_xor_b32 s20, exec_lo, s20
	s_cbranch_execz .LBB0_115
; %bb.114:                              ;   in Loop: Header=BB0_85 Depth=2
	ds_store_b32 v0, v1
	s_trap 2
.LBB0_115:                              ;   in Loop: Header=BB0_85 Depth=2
	s_or_b32 exec_lo, exec_lo, s19
	;;#ASMSTART
	s_wakeup
	;;#ASMEND
.LBB0_116:                              ;   in Loop: Header=BB0_85 Depth=2
	s_or_b32 exec_lo, exec_lo, s18
.LBB0_117:                              ;   in Loop: Header=BB0_85 Depth=2
	s_and_not1_saveexec_b32 s17, s17
	s_cbranch_execz .LBB0_119
; %bb.118:                              ;   in Loop: Header=BB0_85 Depth=2
	global_wb scope:SCOPE_DEV
	s_wait_storecnt 0x0
	s_wait_loadcnt_dscnt 0x0
	global_inv scope:SCOPE_DEV
	s_barrier_signal -1
	s_barrier_wait -1
.LBB0_119:                              ;   in Loop: Header=BB0_85 Depth=2
	s_or_b32 exec_lo, exec_lo, s17
.LBB0_120:                              ;   in Loop: Header=BB0_85 Depth=2
	s_delay_alu instid0(SALU_CYCLE_1)
	s_or_b32 exec_lo, exec_lo, s8
	v_dual_mov_b32 v118, v0 :: v_dual_add_nc_u32 v3, 1, v114
	s_and_saveexec_b32 s17, s7
	s_cbranch_execnz .LBB0_127
; %bb.121:                              ;   in Loop: Header=BB0_85 Depth=2
	s_or_b32 exec_lo, exec_lo, s17
	s_and_saveexec_b32 s8, s3
	s_cbranch_execnz .LBB0_394
.LBB0_122:                              ;   in Loop: Header=BB0_85 Depth=2
	s_or_b32 exec_lo, exec_lo, s8
	s_and_saveexec_b32 s8, s6
	s_cbranch_execz .LBB0_124
.LBB0_123:                              ;   in Loop: Header=BB0_85 Depth=2
	v_add_nc_u64_e32 v[38:39], 1, v[38:39]
	global_wb scope:SCOPE_SYS
	s_wait_storecnt 0x0
	s_wait_loadcnt_dscnt 0x0
	flat_store_b64 v[48:49], v[38:39] scope:SCOPE_SYS
.LBB0_124:                              ;   in Loop: Header=BB0_85 Depth=2
	s_wait_xcnt 0x0
	s_or_b32 exec_lo, exec_lo, s8
	v_and_b32_e32 v54, 0x7ffffff8, v114
	v_cmp_gt_i32_e64 s8, s13, v118
	s_delay_alu instid0(VALU_DEP_2) | instskip(SKIP_1) | instid1(SALU_CYCLE_1)
	v_cmp_eq_u64_e32 vcc_lo, 0x7ffffff8, v[54:55]
	s_and_b32 s17, vcc_lo, s8
	s_and_saveexec_b32 s8, s17
	s_cbranch_execz .LBB0_84
; %bb.125:                              ;   in Loop: Header=BB0_85 Depth=2
	v_dual_ashrrev_i32 v119, 31, v118 :: v_dual_bitop2_b32 v2, 7, v59 bitop3:0x40
	s_mov_b32 s17, 0
	s_wait_loadcnt_dscnt 0x0
	s_delay_alu instid0(VALU_DEP_1) | instskip(NEXT) | instid1(VALU_DEP_1)
	v_mul_lo_u32 v4, s13, v2
	v_dual_mov_b32 v2, v55 :: v_dual_ashrrev_i32 v5, 31, v4
	s_delay_alu instid0(VALU_DEP_1) | instskip(NEXT) | instid1(VALU_DEP_1)
	v_lshlrev_b64_e32 v[4:5], 4, v[4:5]
	v_lshl_add_u64 v[4:5], v[118:119], 4, v[4:5]
	s_delay_alu instid0(VALU_DEP_1)
	v_add_nc_u64_e32 v[16:17], v[36:37], v[4:5]
.LBB0_126:                              ;   Parent Loop BB0_36 Depth=1
                                        ;     Parent Loop BB0_85 Depth=2
                                        ; =>    This Inner Loop Header: Depth=3
	s_delay_alu instid0(VALU_DEP_4)
	v_dual_mov_b32 v4, v2 :: v_dual_mov_b32 v5, v3
	v_add_nc_u32_e32 v118, v118, v20
	global_store_b128 v[16:17], v[2:5], off
	v_cmp_le_i32_e32 vcc_lo, s13, v118
	s_wait_xcnt 0x0
	v_add_nc_u64_e32 v[16:17], v[16:17], v[102:103]
	s_or_b32 s17, vcc_lo, s17
	s_delay_alu instid0(SALU_CYCLE_1)
	s_and_not1_b32 exec_lo, exec_lo, s17
	s_cbranch_execnz .LBB0_126
	s_branch .LBB0_84
.LBB0_127:                              ;   in Loop: Header=BB0_85 Depth=2
	v_and_b32_e32 v2, 7, v34
	s_wait_loadcnt_dscnt 0x0
	v_mad_nc_u64_u32 v[40:41], v68, v4, v[116:117]
	v_dual_add_nc_u32 v60, 1, v34 :: v_dual_mov_b32 v118, v0
	s_mov_b32 s18, 0
	v_mul_lo_u32 v16, v2, s13
	v_dual_mov_b32 v61, v57 :: v_dual_bitop2_b32 v5, 7, v114 bitop3:0x40
	s_delay_alu instid0(VALU_DEP_4) | instskip(SKIP_1) | instid1(VALU_DEP_4)
	v_mad_u32 v2, v69, v4, v41
	v_ashrrev_i32_e32 v4, 31, v4
	v_ashrrev_i32_e32 v17, 31, v16
	s_delay_alu instid0(VALU_DEP_4) | instskip(NEXT) | instid1(VALU_DEP_2)
	v_mul_lo_u32 v18, v5, s13
	v_lshl_add_u64 v[42:43], v[16:17], 4, v[32:33]
	s_delay_alu instid0(VALU_DEP_4) | instskip(NEXT) | instid1(VALU_DEP_3)
	v_mad_u32 v41, v68, v4, v2
	v_ashrrev_i32_e32 v19, 31, v18
	s_delay_alu instid0(VALU_DEP_1)
	v_lshl_add_u64 v[44:45], v[18:19], 4, v[36:37]
	s_branch .LBB0_129
.LBB0_128:                              ;   in Loop: Header=BB0_129 Depth=3
	s_or_b32 exec_lo, exec_lo, s8
	v_dual_lshlrev_b32 v5, 8, v62 :: v_dual_lshlrev_b32 v17, 8, v63
	v_dual_lshlrev_b32 v16, 16, v46 :: v_dual_lshlrev_b32 v18, 16, v72
	;; [unrolled: 1-line block ×3, first 2 shown]
	v_sub_nc_u32_e32 v61, v61, v86
	s_delay_alu instid0(VALU_DEP_3) | instskip(NEXT) | instid1(VALU_DEP_4)
	v_or3_b32 v2, v5, v2, v16
	v_or3_b32 v5, v17, v19, v18
	v_add_nc_u64_e32 v[40:41], v[40:41], v[86:87]
	v_lshl_add_u64 v[16:17], v[118:119], 4, v[44:45]
	v_add_nc_u32_e32 v118, v118, v20
	v_or3_b32 v2, v2, v54, 0
	v_or3_b32 v4, v5, v4, 0
	v_mov_b32_e32 v5, v3
	v_cmp_gt_i32_e32 vcc_lo, 1, v61
	global_store_b128 v[16:17], v[2:5], off
	s_or_b32 s18, vcc_lo, s18
	s_wait_xcnt 0x0
	s_and_not1_b32 exec_lo, exec_lo, s18
	s_cbranch_execz .LBB0_393
.LBB0_129:                              ;   Parent Loop BB0_36 Depth=1
                                        ;     Parent Loop BB0_85 Depth=2
                                        ; =>    This Loop Header: Depth=3
                                        ;         Child Loop BB0_137 Depth 4
	s_delay_alu instid0(VALU_DEP_3)
	v_dual_mov_b32 v5, v41 :: v_dual_bitop2_b32 v4, -4, v40 bitop3:0x40
	v_min_u32_e32 v16, 8, v61
	v_dual_mov_b32 v63, 0 :: v_dual_bitop2_b32 v17, 3, v40 bitop3:0x40
	v_mov_b32_e32 v72, 0
	global_load_b32 v2, v[4:5], off th:TH_LOAD_NT
	s_mov_b32 s8, exec_lo
	v_add_nc_u32_e32 v54, v17, v16
	s_wait_xcnt 0x0
	s_delay_alu instid0(VALU_DEP_1)
	v_cmpx_lt_u32_e32 4, v54
	s_cbranch_execz .LBB0_131
; %bb.130:                              ;   in Loop: Header=BB0_129 Depth=3
	global_load_b32 v72, v[4:5], off offset:4 th:TH_LOAD_NT
.LBB0_131:                              ;   in Loop: Header=BB0_129 Depth=3
	s_wait_xcnt 0x0
	s_or_b32 exec_lo, exec_lo, s8
	s_delay_alu instid0(SALU_CYCLE_1)
	s_mov_b32 s8, exec_lo
	v_cmpx_lt_u64_e32 8, v[54:55]
	s_cbranch_execz .LBB0_133
; %bb.132:                              ;   in Loop: Header=BB0_129 Depth=3
	global_load_b32 v63, v[4:5], off offset:8 th:TH_LOAD_NT
.LBB0_133:                              ;   in Loop: Header=BB0_129 Depth=3
	s_wait_xcnt 0x0
	s_or_b32 exec_lo, exec_lo, s8
	v_ashrrev_i32_e32 v119, 31, v118
	s_mov_b32 s19, exec_lo
	s_delay_alu instid0(VALU_DEP_1)
	v_lshl_add_u64 v[4:5], v[118:119], 4, v[42:43]
	global_load_b128 v[16:19], v[4:5], off th:TH_LOAD_NT
	s_wait_xcnt 0x0
	v_cmpx_eq_u32_e32 0, v21
	s_cbranch_execz .LBB0_145
; %bb.134:                              ;   in Loop: Header=BB0_129 Depth=3
	s_wait_loadcnt 0x0
	v_cmp_ne_u32_e32 vcc_lo, v60, v17
	v_cmp_ne_u32_e64 s8, v60, v19
	v_mov_b32_e32 v21, 0
	s_or_b32 s8, vcc_lo, s8
	s_delay_alu instid0(SALU_CYCLE_1)
	s_and_saveexec_b32 s20, s8
	s_cbranch_execz .LBB0_144
; %bb.135:                              ;   in Loop: Header=BB0_129 Depth=3
	s_mov_b32 s24, 1
	s_mov_b32 s22, 0
                                        ; implicit-def: $sgpr21
                                        ; implicit-def: $sgpr23
	s_branch .LBB0_137
.LBB0_136:                              ;   in Loop: Header=BB0_137 Depth=4
	s_or_b32 exec_lo, exec_lo, s26
	s_delay_alu instid0(SALU_CYCLE_1) | instskip(NEXT) | instid1(SALU_CYCLE_1)
	s_and_b32 s8, exec_lo, s8
	s_or_b32 s22, s8, s22
	s_and_not1_b32 s8, s21, exec_lo
	s_and_b32 s21, s23, exec_lo
	s_delay_alu instid0(SALU_CYCLE_1)
	s_or_b32 s21, s8, s21
	s_and_not1_b32 exec_lo, exec_lo, s22
	s_cbranch_execz .LBB0_141
.LBB0_137:                              ;   Parent Loop BB0_36 Depth=1
                                        ;     Parent Loop BB0_85 Depth=2
                                        ;       Parent Loop BB0_129 Depth=3
                                        ; =>      This Inner Loop Header: Depth=4
	s_wait_loadcnt 0x0
	global_load_b128 v[16:19], v[4:5], off th:TH_LOAD_NT
	s_add_co_i32 s24, s24, 1
	s_mov_b32 s8, -1
	s_cmp_lg_u32 s24, 0x2710
	s_mov_b32 s25, -1
                                        ; implicit-def: $vgpr54
	s_cbranch_scc0 .LBB0_139
; %bb.138:                              ;   in Loop: Header=BB0_137 Depth=4
	s_or_b32 s23, s23, exec_lo
	s_wait_xcnt 0x0
	s_and_saveexec_b32 s26, s25
	s_cbranch_execz .LBB0_136
	s_branch .LBB0_140
.LBB0_139:                              ;   in Loop: Header=BB0_137 Depth=4
	s_trap 2
	ds_load_b64 v[46:47], v0
	s_mov_b32 s24, 0
	s_wait_storecnt 0x0
	s_wait_loadcnt_dscnt 0x0
	flat_load_b32 v54, v[46:47] scope:SCOPE_SYS
	s_wait_loadcnt_dscnt 0x0
	global_inv scope:SCOPE_SYS
	v_cmp_eq_u32_e32 vcc_lo, 0, v54
	s_or_not1_b32 s25, vcc_lo, exec_lo
	s_or_b32 s23, s23, exec_lo
	s_wait_xcnt 0x0
	s_and_saveexec_b32 s26, s25
	s_cbranch_execz .LBB0_136
.LBB0_140:                              ;   in Loop: Header=BB0_137 Depth=4
	s_wait_loadcnt 0x0
	v_cmp_eq_u32_e32 vcc_lo, v60, v17
	v_cmp_eq_u32_e64 s8, v60, v19
	s_and_not1_b32 s23, s23, exec_lo
	s_and_b32 s8, vcc_lo, s8
	s_delay_alu instid0(SALU_CYCLE_1)
	s_or_not1_b32 s8, s8, exec_lo
	s_branch .LBB0_136
.LBB0_141:                              ;   in Loop: Header=BB0_129 Depth=3
	s_or_b32 exec_lo, exec_lo, s22
	v_mov_b32_e32 v21, 0
	s_and_saveexec_b32 s8, s21
	s_delay_alu instid0(SALU_CYCLE_1)
	s_xor_b32 s8, exec_lo, s8
	s_cbranch_execz .LBB0_143
; %bb.142:                              ;   in Loop: Header=BB0_129 Depth=3
	v_mov_b32_e32 v21, 1
	s_wait_loadcnt 0x0
	s_wait_storecnt 0x0
	ds_store_b32 v0, v54
	s_trap 2
.LBB0_143:                              ;   in Loop: Header=BB0_129 Depth=3
	s_or_b32 exec_lo, exec_lo, s8
.LBB0_144:                              ;   in Loop: Header=BB0_129 Depth=3
	s_delay_alu instid0(SALU_CYCLE_1)
	s_or_b32 exec_lo, exec_lo, s20
.LBB0_145:                              ;   in Loop: Header=BB0_129 Depth=3
	s_delay_alu instid0(SALU_CYCLE_1) | instskip(SKIP_4) | instid1(VALU_DEP_2)
	s_or_b32 exec_lo, exec_lo, s19
	s_wait_loadcnt 0x0
	v_and_b32_e32 v54, 0xff, v16
	v_dual_mov_b32 v4, 0 :: v_dual_mov_b32 v5, 0
	s_mov_b32 s8, exec_lo
	v_cmpx_ne_u16_e32 0, v54
	s_cbranch_execz .LBB0_151
; %bb.146:                              ;   in Loop: Header=BB0_129 Depth=3
	v_bfrev_b32_e32 v5, 1
	s_mov_b32 s19, exec_lo
	v_cmpx_ne_u16_e32 0x80, v54
	s_cbranch_execz .LBB0_150
; %bb.147:                              ;   in Loop: Header=BB0_129 Depth=3
	v_and_b32_e32 v54, 0x7f, v16
	v_mov_b32_e32 v5, 0x7f800001
	s_mov_b32 s20, exec_lo
	s_delay_alu instid0(VALU_DEP_2)
	v_cmpx_ne_u32_e32 0x7f, v54
	s_cbranch_execz .LBB0_149
; %bb.148:                              ;   in Loop: Header=BB0_129 Depth=3
	v_dual_lshrrev_b32 v46, 3, v54 :: v_dual_bitop2_b32 v5, 7, v16 bitop3:0x40
	v_cmp_gt_u32_e32 vcc_lo, 8, v54
	s_delay_alu instid0(VALU_DEP_2) | instskip(NEXT) | instid1(VALU_DEP_1)
	v_clz_i32_u32_e32 v5, v5
	v_min_u32_e32 v5, 32, v5
	s_delay_alu instid0(VALU_DEP_1) | instskip(NEXT) | instid1(VALU_DEP_1)
	v_subrev_nc_u32_e32 v54, 28, v5
	v_dual_cndmask_b32 v54, 0, v54 :: v_dual_sub_nc_u32 v5, 29, v5
	s_delay_alu instid0(VALU_DEP_1) | instskip(NEXT) | instid1(VALU_DEP_2)
	v_cndmask_b32_e32 v5, v46, v5, vcc_lo
	v_lshlrev_b64_e32 v[46:47], v54, v[16:17]
	v_lshlrev_b32_e32 v54, 24, v16
	s_delay_alu instid0(VALU_DEP_1) | instskip(NEXT) | instid1(VALU_DEP_3)
	v_and_b32_e32 v54, 0x80000000, v54
	v_lshlrev_b32_e32 v17, 20, v46
	v_lshl_add_u32 v5, v5, 23, 0x3c000000
	s_delay_alu instid0(VALU_DEP_2) | instskip(NEXT) | instid1(VALU_DEP_1)
	v_and_b32_e32 v17, 0x700000, v17
	v_or3_b32 v5, v17, v54, v5
.LBB0_149:                              ;   in Loop: Header=BB0_129 Depth=3
	s_or_b32 exec_lo, exec_lo, s20
.LBB0_150:                              ;   in Loop: Header=BB0_129 Depth=3
	s_delay_alu instid0(SALU_CYCLE_1)
	s_or_b32 exec_lo, exec_lo, s19
.LBB0_151:                              ;   in Loop: Header=BB0_129 Depth=3
	s_delay_alu instid0(SALU_CYCLE_1) | instskip(SKIP_2) | instid1(VALU_DEP_1)
	s_or_b32 exec_lo, exec_lo, s8
	v_lshlrev_b32_e32 v73, 3, v40
	s_mov_b32 s8, exec_lo
	v_alignbit_b32 v54, v72, v2, v73
	s_delay_alu instid0(VALU_DEP_1) | instskip(NEXT) | instid1(VALU_DEP_1)
	v_and_b32_e32 v2, 0xff, v54
	v_cmpx_ne_u16_e32 0, v2
	s_cbranch_execz .LBB0_157
; %bb.152:                              ;   in Loop: Header=BB0_129 Depth=3
	v_bfrev_b32_e32 v4, 1
	s_mov_b32 s19, exec_lo
	v_cmpx_ne_u16_e32 0x80, v2
	s_cbranch_execz .LBB0_156
; %bb.153:                              ;   in Loop: Header=BB0_129 Depth=3
	v_and_b32_e32 v2, 0x7f, v54
	v_mov_b32_e32 v4, 0x7f800001
	s_mov_b32 s20, exec_lo
	s_delay_alu instid0(VALU_DEP_2)
	v_cmpx_ne_u32_e32 0x7f, v2
	s_cbranch_execz .LBB0_155
; %bb.154:                              ;   in Loop: Header=BB0_129 Depth=3
	v_and_b32_e32 v4, 7, v54
	v_lshrrev_b32_e32 v17, 3, v2
	v_cmp_gt_u32_e32 vcc_lo, 8, v2
	s_delay_alu instid0(VALU_DEP_3) | instskip(NEXT) | instid1(VALU_DEP_1)
	v_clz_i32_u32_e32 v2, v4
	v_min_u32_e32 v2, 32, v2
	s_delay_alu instid0(VALU_DEP_1) | instskip(NEXT) | instid1(VALU_DEP_1)
	v_subrev_nc_u32_e32 v4, 28, v2
	v_dual_sub_nc_u32 v2, 29, v2 :: v_dual_cndmask_b32 v4, 0, v4, vcc_lo
	s_delay_alu instid0(VALU_DEP_1) | instskip(SKIP_1) | instid1(VALU_DEP_3)
	v_cndmask_b32_e32 v2, v17, v2, vcc_lo
	v_lshlrev_b32_e32 v17, 24, v54
	v_lshlrev_b64_e32 v[46:47], v4, v[54:55]
	s_delay_alu instid0(VALU_DEP_3) | instskip(NEXT) | instid1(VALU_DEP_3)
	v_lshl_add_u32 v2, v2, 23, 0x3c000000
	v_and_b32_e32 v17, 0x80000000, v17
	s_delay_alu instid0(VALU_DEP_3) | instskip(NEXT) | instid1(VALU_DEP_1)
	v_lshlrev_b32_e32 v4, 20, v46
	v_and_b32_e32 v4, 0x700000, v4
	s_delay_alu instid0(VALU_DEP_1)
	v_or3_b32 v4, v4, v17, v2
.LBB0_155:                              ;   in Loop: Header=BB0_129 Depth=3
	s_or_b32 exec_lo, exec_lo, s20
.LBB0_156:                              ;   in Loop: Header=BB0_129 Depth=3
	s_delay_alu instid0(SALU_CYCLE_1)
	s_or_b32 exec_lo, exec_lo, s19
.LBB0_157:                              ;   in Loop: Header=BB0_129 Depth=3
	s_delay_alu instid0(SALU_CYCLE_1) | instskip(NEXT) | instid1(VALU_DEP_1)
	s_or_b32 exec_lo, exec_lo, s8
	v_dual_add_f32 v4, v5, v4 :: v_dual_mov_b32 v47, v55
                                        ; implicit-def: $vgpr2
	s_mov_b32 s8, exec_lo
	s_delay_alu instid0(VALU_DEP_1) | instskip(SKIP_1) | instid1(VALU_DEP_2)
	v_and_b32_e32 v46, 0x7f800000, v4
	v_lshrrev_b32_e32 v5, 24, v4
	v_cmpx_ne_u64_e32 0x7f800000, v[46:47]
	s_xor_b32 s19, exec_lo, s8
	s_cbranch_execz .LBB0_171
; %bb.158:                              ;   in Loop: Header=BB0_129 Depth=3
	v_and_b32_e32 v46, 0x7fffffff, v4
	v_mov_b32_e32 v47, v55
	v_and_b32_e32 v17, 0x80, v5
                                        ; implicit-def: $vgpr2
	s_mov_b32 s8, exec_lo
	s_delay_alu instid0(VALU_DEP_2)
	v_cmpx_gt_u64_e32 0x43e00001, v[46:47]
	s_xor_b32 s20, exec_lo, s8
	s_cbranch_execz .LBB0_168
; %bb.159:                              ;   in Loop: Header=BB0_129 Depth=3
	v_mov_b32_e32 v2, 0
	s_mov_b32 s21, exec_lo
	v_cmpx_ne_u32_e32 0, v4
	s_cbranch_execz .LBB0_167
; %bb.160:                              ;   in Loop: Header=BB0_129 Depth=3
	v_bfe_u32 v2, v4, 23, 8
	v_and_b32_e32 v46, 0x7fffff, v4
	s_mov_b32 s22, exec_lo
	s_delay_alu instid0(VALU_DEP_2) | instskip(SKIP_3) | instid1(VALU_DEP_1)
	v_sub_nc_u32_e32 v5, 0x79, v2
	v_cmp_gt_u32_e64 s8, 0x7a, v2
	v_cmp_eq_u32_e32 vcc_lo, 0, v2
	v_or_b32_e32 v47, 0x800000, v46
	v_dual_cndmask_b32 v5, 0, v5, s8 :: v_dual_cndmask_b32 v46, v47, v46, vcc_lo
	v_mov_b32_e32 v47, v55
	s_delay_alu instid0(VALU_DEP_2) | instskip(NEXT) | instid1(VALU_DEP_1)
	v_cndmask_b32_e64 v62, v5, 0x78, vcc_lo
	v_dual_add_nc_u32 v4, 20, v62 :: v_dual_add_nc_u32 v74, 19, v62
	s_delay_alu instid0(VALU_DEP_1) | instskip(NEXT) | instid1(VALU_DEP_2)
	v_lshlrev_b64_e64 v[4:5], v4, -1
	v_lshlrev_b64_e64 v[74:75], v74, 1
	s_delay_alu instid0(VALU_DEP_2) | instskip(NEXT) | instid1(VALU_DEP_3)
	v_bfi_b32 v77, v5, 0, 0
	v_bfi_b32 v76, v4, 0, v46
	v_lshrrev_b64 v[4:5], v62, v[46:47]
	s_delay_alu instid0(VALU_DEP_1) | instskip(NEXT) | instid1(VALU_DEP_3)
	v_mov_b64_e32 v[46:47], v[4:5]
	v_cmpx_eq_u64_e64 v[76:77], v[74:75]
; %bb.161:                              ;   in Loop: Header=BB0_129 Depth=3
	v_bfe_u32 v46, v4, 20, 1
	v_mov_b32_e32 v47, v55
	s_delay_alu instid0(VALU_DEP_1) | instskip(NEXT) | instid1(VALU_DEP_1)
	v_add_nc_u64_e32 v[46:47], v[4:5], v[46:47]
	v_add_nc_u64_e32 v[46:47], -1, v[46:47]
; %bb.162:                              ;   in Loop: Header=BB0_129 Depth=3
	s_or_b32 exec_lo, exec_lo, s22
	v_add_nc_u32_e32 v2, 0xffffff81, v2
	v_lshrrev_b32_e32 v5, 23, v4
	s_mov_b32 s8, exec_lo
	s_delay_alu instid0(VALU_DEP_2) | instskip(NEXT) | instid1(VALU_DEP_1)
	v_cndmask_b32_e64 v2, v2, 0xffffff82, vcc_lo
	v_add3_u32 v47, v62, v2, v5
	v_and_b32_e32 v2, 0xfffff, v46
	s_delay_alu instid0(VALU_DEP_2) | instskip(NEXT) | instid1(VALU_DEP_2)
	v_dual_mov_b32 v5, v55 :: v_dual_add_nc_u32 v46, 6, v47
	v_add_nc_u32_e32 v4, v2, v4
                                        ; implicit-def: $vgpr2
	s_delay_alu instid0(VALU_DEP_2)
	v_cmpx_ne_u32_e32 0, v46
	s_xor_b32 s8, exec_lo, s8
; %bb.163:                              ;   in Loop: Header=BB0_129 Depth=3
	s_delay_alu instid0(VALU_DEP_2) | instskip(SKIP_1) | instid1(VALU_DEP_1)
	v_cmp_lt_u64_e32 vcc_lo, 0xffffff, v[4:5]
	v_add_nc_u32_e32 v2, 7, v47
	v_cndmask_b32_e32 v2, v46, v2, vcc_lo
	v_cndmask_b32_e64 v46, 0, 1, vcc_lo
	s_delay_alu instid0(VALU_DEP_1)
	v_lshrrev_b64 v[4:5], v46, v[4:5]
; %bb.164:                              ;   in Loop: Header=BB0_129 Depth=3
	s_and_not1_saveexec_b32 s8, s8
; %bb.165:                              ;   in Loop: Header=BB0_129 Depth=3
	s_delay_alu instid0(VALU_DEP_1)
	v_bfe_u32 v2, v4, 23, 1
; %bb.166:                              ;   in Loop: Header=BB0_129 Depth=3
	s_or_b32 exec_lo, exec_lo, s8
	s_delay_alu instid0(VALU_DEP_2) | instskip(NEXT) | instid1(VALU_DEP_2)
	v_lshrrev_b64 v[4:5], 20, v[4:5]
	v_cmp_gt_i32_e32 vcc_lo, 16, v2
	v_min_i32_e32 v46, 15, v2
	v_cmp_eq_u32_e64 s8, 0, v2
	s_delay_alu instid0(VALU_DEP_2) | instskip(SKIP_1) | instid1(VALU_DEP_2)
	v_dual_cndmask_b32 v5, 0, v5 :: v_dual_lshlrev_b32 v46, 3, v46
	v_cndmask_b32_e32 v4, 7, v4, vcc_lo
	v_and_b32_e32 v46, 0xf8, v46
	s_delay_alu instid0(VALU_DEP_2) | instskip(NEXT) | instid1(VALU_DEP_2)
	v_cmp_eq_u64_e32 vcc_lo, 0, v[4:5]
	v_and_or_b32 v2, v4, 7, v46
	s_and_b32 s8, s8, vcc_lo
	s_delay_alu instid0(VALU_DEP_1) | instid1(SALU_CYCLE_1)
	v_cndmask_b32_e64 v2, v2, 0, s8
	s_delay_alu instid0(VALU_DEP_1)
	v_or_b32_e32 v2, v2, v17
.LBB0_167:                              ;   in Loop: Header=BB0_129 Depth=3
	s_or_b32 exec_lo, exec_lo, s21
                                        ; implicit-def: $vgpr17
.LBB0_168:                              ;   in Loop: Header=BB0_129 Depth=3
	s_and_not1_saveexec_b32 s8, s20
; %bb.169:                              ;   in Loop: Header=BB0_129 Depth=3
	v_or_b32_e32 v2, 0x7e, v17
; %bb.170:                              ;   in Loop: Header=BB0_129 Depth=3
	s_or_b32 exec_lo, exec_lo, s8
                                        ; implicit-def: $vgpr5
.LBB0_171:                              ;   in Loop: Header=BB0_129 Depth=3
	s_and_not1_saveexec_b32 s8, s19
; %bb.172:                              ;   in Loop: Header=BB0_129 Depth=3
	v_or_b32_e32 v2, 0x7f, v5
; %bb.173:                              ;   in Loop: Header=BB0_129 Depth=3
	s_or_b32 exec_lo, exec_lo, s8
	v_lshrrev_b16 v4, 8, v16
	v_dual_mov_b32 v17, 0 :: v_dual_mov_b32 v46, 0
	s_mov_b32 s8, exec_lo
	s_delay_alu instid0(VALU_DEP_2)
	v_cmpx_ne_u16_e32 0, v4
	s_cbranch_execz .LBB0_181
; %bb.174:                              ;   in Loop: Header=BB0_129 Depth=3
	v_bfrev_b32_e32 v46, 1
	s_mov_b32 s19, exec_lo
	v_cmpx_ne_u16_e32 0x80, v4
	s_cbranch_execz .LBB0_180
; %bb.175:                              ;   in Loop: Header=BB0_129 Depth=3
	v_and_b32_e32 v4, 0xffff, v4
	v_mov_b32_e32 v46, 0x7f800001
	s_mov_b32 s20, exec_lo
	s_delay_alu instid0(VALU_DEP_2) | instskip(NEXT) | instid1(VALU_DEP_1)
	v_and_b32_e32 v47, 0x7f, v4
	v_cmpx_ne_u32_e32 0x7f, v47
	s_cbranch_execz .LBB0_179
; %bb.176:                              ;   in Loop: Header=BB0_129 Depth=3
	v_dual_mov_b32 v5, v55 :: v_dual_bitop2_b32 v4, 7, v4 bitop3:0x40
	v_lshrrev_b32_e32 v46, 3, v47
	s_mov_b32 s21, exec_lo
	v_cmpx_gt_u32_e32 8, v47
; %bb.177:                              ;   in Loop: Header=BB0_129 Depth=3
	s_delay_alu instid0(VALU_DEP_3) | instskip(NEXT) | instid1(VALU_DEP_1)
	v_clz_i32_u32_e32 v46, v4
	v_min_u32_e32 v46, 32, v46
	s_delay_alu instid0(VALU_DEP_1) | instskip(NEXT) | instid1(VALU_DEP_1)
	v_subrev_nc_u32_e32 v47, 28, v46
	v_lshlrev_b64_e32 v[4:5], v47, v[4:5]
	s_delay_alu instid0(VALU_DEP_1)
	v_dual_sub_nc_u32 v46, 29, v46 :: v_dual_bitop2_b32 v4, 7, v4 bitop3:0x40
; %bb.178:                              ;   in Loop: Header=BB0_129 Depth=3
	s_or_b32 exec_lo, exec_lo, s21
	v_lshlrev_b32_e32 v5, 16, v16
	s_delay_alu instid0(VALU_DEP_2) | instskip(NEXT) | instid1(VALU_DEP_3)
	v_lshlrev_b32_e32 v4, 20, v4
	v_lshl_add_u32 v46, v46, 23, 0x3c000000
	s_delay_alu instid0(VALU_DEP_3) | instskip(NEXT) | instid1(VALU_DEP_1)
	v_and_b32_e32 v5, 0x80000000, v5
	v_or3_b32 v46, v4, v5, v46
.LBB0_179:                              ;   in Loop: Header=BB0_129 Depth=3
	s_or_b32 exec_lo, exec_lo, s20
.LBB0_180:                              ;   in Loop: Header=BB0_129 Depth=3
	s_delay_alu instid0(SALU_CYCLE_1)
	s_or_b32 exec_lo, exec_lo, s19
.LBB0_181:                              ;   in Loop: Header=BB0_129 Depth=3
	s_delay_alu instid0(SALU_CYCLE_1) | instskip(SKIP_2) | instid1(VALU_DEP_1)
	s_or_b32 exec_lo, exec_lo, s8
	v_lshrrev_b16 v4, 8, v54
	s_mov_b32 s8, exec_lo
	v_cmpx_ne_u16_e32 0, v4
	s_cbranch_execz .LBB0_189
; %bb.182:                              ;   in Loop: Header=BB0_129 Depth=3
	v_bfrev_b32_e32 v17, 1
	s_mov_b32 s19, exec_lo
	v_cmpx_ne_u16_e32 0x80, v4
	s_cbranch_execz .LBB0_188
; %bb.183:                              ;   in Loop: Header=BB0_129 Depth=3
	v_and_b32_e32 v4, 0xffff, v4
	v_mov_b32_e32 v17, 0x7f800001
	s_mov_b32 s20, exec_lo
	s_delay_alu instid0(VALU_DEP_2) | instskip(NEXT) | instid1(VALU_DEP_1)
	v_and_b32_e32 v47, 0x7f, v4
	v_cmpx_ne_u32_e32 0x7f, v47
	s_cbranch_execz .LBB0_187
; %bb.184:                              ;   in Loop: Header=BB0_129 Depth=3
	v_dual_mov_b32 v5, v55 :: v_dual_bitop2_b32 v4, 7, v4 bitop3:0x40
	v_lshrrev_b32_e32 v17, 3, v47
	s_mov_b32 s21, exec_lo
	v_cmpx_gt_u32_e32 8, v47
; %bb.185:                              ;   in Loop: Header=BB0_129 Depth=3
	s_delay_alu instid0(VALU_DEP_3) | instskip(NEXT) | instid1(VALU_DEP_1)
	v_clz_i32_u32_e32 v17, v4
	v_min_u32_e32 v17, 32, v17
	s_delay_alu instid0(VALU_DEP_1) | instskip(NEXT) | instid1(VALU_DEP_1)
	v_subrev_nc_u32_e32 v47, 28, v17
	v_lshlrev_b64_e32 v[4:5], v47, v[4:5]
	s_delay_alu instid0(VALU_DEP_1)
	v_dual_sub_nc_u32 v17, 29, v17 :: v_dual_bitop2_b32 v4, 7, v4 bitop3:0x40
; %bb.186:                              ;   in Loop: Header=BB0_129 Depth=3
	s_or_b32 exec_lo, exec_lo, s21
	s_delay_alu instid0(VALU_DEP_1) | instskip(NEXT) | instid1(VALU_DEP_2)
	v_dual_lshlrev_b32 v5, 16, v54 :: v_dual_lshlrev_b32 v4, 20, v4
	v_lshl_add_u32 v17, v17, 23, 0x3c000000
	s_delay_alu instid0(VALU_DEP_2) | instskip(NEXT) | instid1(VALU_DEP_1)
	v_and_b32_e32 v5, 0x80000000, v5
	v_or3_b32 v17, v4, v5, v17
.LBB0_187:                              ;   in Loop: Header=BB0_129 Depth=3
	s_or_b32 exec_lo, exec_lo, s20
.LBB0_188:                              ;   in Loop: Header=BB0_129 Depth=3
	s_delay_alu instid0(SALU_CYCLE_1)
	s_or_b32 exec_lo, exec_lo, s19
.LBB0_189:                              ;   in Loop: Header=BB0_129 Depth=3
	s_delay_alu instid0(SALU_CYCLE_1) | instskip(NEXT) | instid1(VALU_DEP_1)
	s_or_b32 exec_lo, exec_lo, s8
	v_dual_add_f32 v4, v46, v17 :: v_dual_mov_b32 v47, v55
                                        ; implicit-def: $vgpr62
	s_mov_b32 s8, exec_lo
	s_delay_alu instid0(VALU_DEP_1) | instskip(SKIP_1) | instid1(VALU_DEP_2)
	v_and_b32_e32 v46, 0x7f800000, v4
	v_lshrrev_b32_e32 v5, 24, v4
	v_cmpx_ne_u64_e32 0x7f800000, v[46:47]
	s_xor_b32 s19, exec_lo, s8
	s_cbranch_execz .LBB0_203
; %bb.190:                              ;   in Loop: Header=BB0_129 Depth=3
	v_and_b32_e32 v46, 0x7fffffff, v4
	v_mov_b32_e32 v47, v55
	v_and_b32_e32 v17, 0x80, v5
                                        ; implicit-def: $vgpr62
	s_mov_b32 s8, exec_lo
	s_delay_alu instid0(VALU_DEP_2)
	v_cmpx_gt_u64_e32 0x43e00001, v[46:47]
	s_xor_b32 s20, exec_lo, s8
	s_cbranch_execz .LBB0_200
; %bb.191:                              ;   in Loop: Header=BB0_129 Depth=3
	v_mov_b32_e32 v62, 0
	s_mov_b32 s21, exec_lo
	v_cmpx_ne_u32_e32 0, v4
	s_cbranch_execz .LBB0_199
; %bb.192:                              ;   in Loop: Header=BB0_129 Depth=3
	v_bfe_u32 v62, v4, 23, 8
	v_and_b32_e32 v46, 0x7fffff, v4
	s_mov_b32 s22, exec_lo
	s_delay_alu instid0(VALU_DEP_2) | instskip(SKIP_1) | instid1(VALU_DEP_3)
	v_sub_nc_u32_e32 v5, 0x79, v62
	v_cmp_gt_u32_e32 vcc_lo, 0x7a, v62
	v_or_b32_e32 v47, 0x800000, v46
	s_delay_alu instid0(VALU_DEP_3) | instskip(SKIP_1) | instid1(VALU_DEP_2)
	v_cndmask_b32_e32 v5, 0, v5, vcc_lo
	v_cmp_eq_u32_e32 vcc_lo, 0, v62
	v_cndmask_b32_e64 v74, v5, 0x78, vcc_lo
	s_delay_alu instid0(VALU_DEP_4) | instskip(NEXT) | instid1(VALU_DEP_2)
	v_cndmask_b32_e32 v46, v47, v46, vcc_lo
	v_dual_mov_b32 v47, v55 :: v_dual_add_nc_u32 v75, 19, v74
	v_add_nc_u32_e32 v4, 20, v74
	s_delay_alu instid0(VALU_DEP_2) | instskip(NEXT) | instid1(VALU_DEP_2)
	v_lshlrev_b64_e64 v[76:77], v75, 1
	v_lshlrev_b64_e64 v[4:5], v4, -1
	s_delay_alu instid0(VALU_DEP_1) | instskip(NEXT) | instid1(VALU_DEP_2)
	v_bfi_b32 v79, v5, 0, 0
	v_bfi_b32 v78, v4, 0, v46
	v_lshrrev_b64 v[4:5], v74, v[46:47]
	s_delay_alu instid0(VALU_DEP_1) | instskip(NEXT) | instid1(VALU_DEP_3)
	v_mov_b64_e32 v[46:47], v[4:5]
	v_cmpx_eq_u64_e64 v[78:79], v[76:77]
; %bb.193:                              ;   in Loop: Header=BB0_129 Depth=3
	v_bfe_u32 v46, v4, 20, 1
	v_mov_b32_e32 v47, v55
	s_delay_alu instid0(VALU_DEP_1) | instskip(NEXT) | instid1(VALU_DEP_1)
	v_add_nc_u64_e32 v[46:47], v[4:5], v[46:47]
	v_add_nc_u64_e32 v[46:47], -1, v[46:47]
; %bb.194:                              ;   in Loop: Header=BB0_129 Depth=3
	s_or_b32 exec_lo, exec_lo, s22
	v_add_nc_u32_e32 v5, 0xffffff81, v62
	v_lshrrev_b32_e32 v47, 23, v4
	s_mov_b32 s8, exec_lo
	s_delay_alu instid0(VALU_DEP_2) | instskip(NEXT) | instid1(VALU_DEP_1)
	v_cndmask_b32_e64 v5, v5, 0xffffff82, vcc_lo
	v_add3_u32 v47, v74, v5, v47
	v_and_b32_e32 v5, 0xfffff, v46
                                        ; implicit-def: $vgpr46
	s_delay_alu instid0(VALU_DEP_1) | instskip(SKIP_1) | instid1(VALU_DEP_2)
	v_dual_add_nc_u32 v62, 6, v47 :: v_dual_add_nc_u32 v4, v5, v4
	v_mov_b32_e32 v5, v55
	v_cmpx_ne_u32_e32 0, v62
	s_xor_b32 s8, exec_lo, s8
; %bb.195:                              ;   in Loop: Header=BB0_129 Depth=3
	s_delay_alu instid0(VALU_DEP_2) | instskip(SKIP_2) | instid1(VALU_DEP_2)
	v_cmp_lt_u64_e32 vcc_lo, 0xffffff, v[4:5]
	v_add_nc_u32_e32 v46, 7, v47
	v_cndmask_b32_e64 v47, 0, 1, vcc_lo
	v_cndmask_b32_e32 v46, v62, v46, vcc_lo
	s_delay_alu instid0(VALU_DEP_2)
	v_lshrrev_b64 v[4:5], v47, v[4:5]
; %bb.196:                              ;   in Loop: Header=BB0_129 Depth=3
	s_and_not1_saveexec_b32 s8, s8
; %bb.197:                              ;   in Loop: Header=BB0_129 Depth=3
	s_delay_alu instid0(VALU_DEP_1)
	v_bfe_u32 v46, v4, 23, 1
; %bb.198:                              ;   in Loop: Header=BB0_129 Depth=3
	s_or_b32 exec_lo, exec_lo, s8
	s_delay_alu instid0(VALU_DEP_2) | instskip(NEXT) | instid1(VALU_DEP_2)
	v_lshrrev_b64 v[4:5], 20, v[4:5]
	v_cmp_gt_i32_e32 vcc_lo, 16, v46
	v_min_i32_e32 v47, 15, v46
	v_cmp_eq_u32_e64 s8, 0, v46
	s_delay_alu instid0(VALU_DEP_2) | instskip(SKIP_1) | instid1(VALU_DEP_2)
	v_dual_cndmask_b32 v5, 0, v5, vcc_lo :: v_dual_lshlrev_b32 v47, 3, v47
	v_cndmask_b32_e32 v4, 7, v4, vcc_lo
	v_and_b32_e32 v47, 0xf8, v47
	s_delay_alu instid0(VALU_DEP_2) | instskip(NEXT) | instid1(VALU_DEP_2)
	v_cmp_eq_u64_e32 vcc_lo, 0, v[4:5]
	v_and_or_b32 v4, v4, 7, v47
	s_and_b32 s8, s8, vcc_lo
	s_delay_alu instid0(VALU_DEP_1) | instid1(SALU_CYCLE_1)
	v_cndmask_b32_e64 v4, v4, 0, s8
	s_delay_alu instid0(VALU_DEP_1)
	v_or_b32_e32 v62, v4, v17
.LBB0_199:                              ;   in Loop: Header=BB0_129 Depth=3
	s_or_b32 exec_lo, exec_lo, s21
                                        ; implicit-def: $vgpr17
.LBB0_200:                              ;   in Loop: Header=BB0_129 Depth=3
	s_and_not1_saveexec_b32 s8, s20
; %bb.201:                              ;   in Loop: Header=BB0_129 Depth=3
	v_or_b32_e32 v62, 0x7e, v17
; %bb.202:                              ;   in Loop: Header=BB0_129 Depth=3
	s_or_b32 exec_lo, exec_lo, s8
                                        ; implicit-def: $vgpr5
.LBB0_203:                              ;   in Loop: Header=BB0_129 Depth=3
	s_and_not1_saveexec_b32 s8, s19
; %bb.204:                              ;   in Loop: Header=BB0_129 Depth=3
	v_or_b32_e32 v62, 0x7f, v5
; %bb.205:                              ;   in Loop: Header=BB0_129 Depth=3
	s_or_b32 exec_lo, exec_lo, s8
	v_dual_lshrrev_b32 v47, 16, v16 :: v_dual_mov_b32 v17, 0
	v_mov_b32_e32 v46, 0
	s_mov_b32 s8, exec_lo
	s_delay_alu instid0(VALU_DEP_2) | instskip(NEXT) | instid1(VALU_DEP_1)
	v_and_b32_e32 v4, 0xff, v47
	v_cmpx_ne_u16_e32 0, v4
	s_cbranch_execz .LBB0_213
; %bb.206:                              ;   in Loop: Header=BB0_129 Depth=3
	v_bfrev_b32_e32 v46, 1
	s_mov_b32 s19, exec_lo
	v_cmpx_ne_u16_e32 0x80, v4
	s_cbranch_execz .LBB0_212
; %bb.207:                              ;   in Loop: Header=BB0_129 Depth=3
	v_bfe_u32 v74, v16, 16, 7
	v_mov_b32_e32 v46, 0x7f800001
	s_mov_b32 s20, exec_lo
	s_delay_alu instid0(VALU_DEP_2)
	v_cmpx_ne_u32_e32 0x7f, v74
	s_cbranch_execz .LBB0_211
; %bb.208:                              ;   in Loop: Header=BB0_129 Depth=3
	v_dual_mov_b32 v5, v55 :: v_dual_bitop2_b32 v4, 7, v47 bitop3:0x40
	v_lshrrev_b32_e32 v46, 3, v74
	s_mov_b32 s21, exec_lo
	v_cmpx_gt_u32_e32 8, v74
; %bb.209:                              ;   in Loop: Header=BB0_129 Depth=3
	s_delay_alu instid0(VALU_DEP_3) | instskip(NEXT) | instid1(VALU_DEP_1)
	v_clz_i32_u32_e32 v46, v4
	v_min_u32_e32 v46, 32, v46
	s_delay_alu instid0(VALU_DEP_1) | instskip(NEXT) | instid1(VALU_DEP_1)
	v_subrev_nc_u32_e32 v74, 28, v46
	v_lshlrev_b64_e32 v[4:5], v74, v[4:5]
	s_delay_alu instid0(VALU_DEP_1)
	v_dual_sub_nc_u32 v46, 29, v46 :: v_dual_bitop2_b32 v4, 7, v4 bitop3:0x40
; %bb.210:                              ;   in Loop: Header=BB0_129 Depth=3
	s_or_b32 exec_lo, exec_lo, s21
	s_delay_alu instid0(VALU_DEP_1) | instskip(NEXT) | instid1(VALU_DEP_2)
	v_dual_lshlrev_b32 v5, 24, v47 :: v_dual_lshlrev_b32 v4, 20, v4
	v_lshl_add_u32 v46, v46, 23, 0x3c000000
	s_delay_alu instid0(VALU_DEP_2) | instskip(NEXT) | instid1(VALU_DEP_1)
	v_and_b32_e32 v5, 0x80000000, v5
	v_or3_b32 v46, v4, v5, v46
.LBB0_211:                              ;   in Loop: Header=BB0_129 Depth=3
	s_or_b32 exec_lo, exec_lo, s20
.LBB0_212:                              ;   in Loop: Header=BB0_129 Depth=3
	s_delay_alu instid0(SALU_CYCLE_1)
	s_or_b32 exec_lo, exec_lo, s19
.LBB0_213:                              ;   in Loop: Header=BB0_129 Depth=3
	s_delay_alu instid0(SALU_CYCLE_1) | instskip(SKIP_2) | instid1(VALU_DEP_1)
	s_or_b32 exec_lo, exec_lo, s8
	v_lshrrev_b32_e32 v4, 16, v54
	s_mov_b32 s8, exec_lo
	v_and_b32_e32 v5, 0xff, v4
	s_delay_alu instid0(VALU_DEP_1)
	v_cmpx_ne_u16_e32 0, v5
	s_cbranch_execz .LBB0_221
; %bb.214:                              ;   in Loop: Header=BB0_129 Depth=3
	v_bfrev_b32_e32 v17, 1
	s_mov_b32 s19, exec_lo
	v_cmpx_ne_u16_e32 0x80, v5
	s_cbranch_execz .LBB0_220
; %bb.215:                              ;   in Loop: Header=BB0_129 Depth=3
	v_bfe_u32 v47, v54, 16, 7
	v_mov_b32_e32 v17, 0x7f800001
	s_mov_b32 s20, exec_lo
	s_delay_alu instid0(VALU_DEP_2)
	v_cmpx_ne_u32_e32 0x7f, v47
	s_cbranch_execz .LBB0_219
; %bb.216:                              ;   in Loop: Header=BB0_129 Depth=3
	v_dual_mov_b32 v5, v55 :: v_dual_bitop2_b32 v4, 7, v4 bitop3:0x40
	v_lshrrev_b32_e32 v17, 3, v47
	s_mov_b32 s21, exec_lo
	v_cmpx_gt_u32_e32 8, v47
; %bb.217:                              ;   in Loop: Header=BB0_129 Depth=3
	s_delay_alu instid0(VALU_DEP_3) | instskip(NEXT) | instid1(VALU_DEP_1)
	v_clz_i32_u32_e32 v17, v4
	v_min_u32_e32 v17, 32, v17
	s_delay_alu instid0(VALU_DEP_1) | instskip(NEXT) | instid1(VALU_DEP_1)
	v_subrev_nc_u32_e32 v47, 28, v17
	v_lshlrev_b64_e32 v[4:5], v47, v[4:5]
	s_delay_alu instid0(VALU_DEP_1)
	v_dual_sub_nc_u32 v17, 29, v17 :: v_dual_bitop2_b32 v4, 7, v4 bitop3:0x40
; %bb.218:                              ;   in Loop: Header=BB0_129 Depth=3
	s_or_b32 exec_lo, exec_lo, s21
	s_delay_alu instid0(VALU_DEP_1) | instskip(NEXT) | instid1(VALU_DEP_2)
	v_dual_lshlrev_b32 v5, 8, v54 :: v_dual_lshlrev_b32 v4, 20, v4
	v_lshl_add_u32 v17, v17, 23, 0x3c000000
	s_delay_alu instid0(VALU_DEP_2) | instskip(NEXT) | instid1(VALU_DEP_1)
	v_and_b32_e32 v5, 0x80000000, v5
	v_or3_b32 v17, v4, v5, v17
.LBB0_219:                              ;   in Loop: Header=BB0_129 Depth=3
	s_or_b32 exec_lo, exec_lo, s20
.LBB0_220:                              ;   in Loop: Header=BB0_129 Depth=3
	s_delay_alu instid0(SALU_CYCLE_1)
	s_or_b32 exec_lo, exec_lo, s19
.LBB0_221:                              ;   in Loop: Header=BB0_129 Depth=3
	s_delay_alu instid0(SALU_CYCLE_1) | instskip(NEXT) | instid1(VALU_DEP_1)
	s_or_b32 exec_lo, exec_lo, s8
	v_dual_add_f32 v4, v46, v17 :: v_dual_mov_b32 v47, v55
	s_delay_alu instid0(VALU_DEP_1) | instskip(SKIP_1) | instid1(VALU_DEP_2)
	v_and_b32_e32 v46, 0x7f800000, v4
	v_lshrrev_b32_e32 v5, 24, v4
	v_cmp_ne_u64_e32 vcc_lo, 0x7f800000, v[46:47]
                                        ; implicit-def: $vgpr46
	s_and_saveexec_b32 s8, vcc_lo
	s_delay_alu instid0(SALU_CYCLE_1)
	s_xor_b32 s19, exec_lo, s8
	s_cbranch_execz .LBB0_235
; %bb.222:                              ;   in Loop: Header=BB0_129 Depth=3
	v_and_b32_e32 v46, 0x7fffffff, v4
	v_mov_b32_e32 v47, v55
	v_and_b32_e32 v17, 0x80, v5
	s_delay_alu instid0(VALU_DEP_2) | instskip(SKIP_1) | instid1(SALU_CYCLE_1)
	v_cmp_gt_u64_e32 vcc_lo, 0x43e00001, v[46:47]
                                        ; implicit-def: $vgpr46
	s_and_saveexec_b32 s8, vcc_lo
	s_xor_b32 s20, exec_lo, s8
	s_cbranch_execz .LBB0_232
; %bb.223:                              ;   in Loop: Header=BB0_129 Depth=3
	v_mov_b32_e32 v46, 0
	s_mov_b32 s21, exec_lo
	v_cmpx_ne_u32_e32 0, v4
	s_cbranch_execz .LBB0_231
; %bb.224:                              ;   in Loop: Header=BB0_129 Depth=3
	v_bfe_u32 v74, v4, 23, 8
	v_and_b32_e32 v46, 0x7fffff, v4
	s_mov_b32 s22, exec_lo
	s_delay_alu instid0(VALU_DEP_2) | instskip(SKIP_1) | instid1(VALU_DEP_3)
	v_sub_nc_u32_e32 v5, 0x79, v74
	v_cmp_gt_u32_e32 vcc_lo, 0x7a, v74
	v_or_b32_e32 v47, 0x800000, v46
	s_delay_alu instid0(VALU_DEP_3) | instskip(SKIP_1) | instid1(VALU_DEP_2)
	v_cndmask_b32_e32 v5, 0, v5, vcc_lo
	v_cmp_eq_u32_e32 vcc_lo, 0, v74
	v_cndmask_b32_e64 v75, v5, 0x78, vcc_lo
	s_delay_alu instid0(VALU_DEP_4) | instskip(NEXT) | instid1(VALU_DEP_2)
	v_cndmask_b32_e32 v46, v47, v46, vcc_lo
	v_dual_mov_b32 v47, v55 :: v_dual_add_nc_u32 v4, 20, v75
	v_add_nc_u32_e32 v76, 19, v75
	s_delay_alu instid0(VALU_DEP_2) | instskip(NEXT) | instid1(VALU_DEP_2)
	v_lshlrev_b64_e64 v[4:5], v4, -1
	v_lshlrev_b64_e64 v[76:77], v76, 1
	s_delay_alu instid0(VALU_DEP_2) | instskip(NEXT) | instid1(VALU_DEP_3)
	v_bfi_b32 v79, v5, 0, 0
	v_bfi_b32 v78, v4, 0, v46
	v_lshrrev_b64 v[4:5], v75, v[46:47]
	s_delay_alu instid0(VALU_DEP_1) | instskip(NEXT) | instid1(VALU_DEP_3)
	v_mov_b64_e32 v[46:47], v[4:5]
	v_cmpx_eq_u64_e64 v[78:79], v[76:77]
; %bb.225:                              ;   in Loop: Header=BB0_129 Depth=3
	v_bfe_u32 v46, v4, 20, 1
	v_mov_b32_e32 v47, v55
	s_delay_alu instid0(VALU_DEP_1) | instskip(NEXT) | instid1(VALU_DEP_1)
	v_add_nc_u64_e32 v[46:47], v[4:5], v[46:47]
	v_add_nc_u64_e32 v[46:47], -1, v[46:47]
; %bb.226:                              ;   in Loop: Header=BB0_129 Depth=3
	s_or_b32 exec_lo, exec_lo, s22
	v_add_nc_u32_e32 v5, 0xffffff81, v74
	v_lshrrev_b32_e32 v47, 23, v4
	s_mov_b32 s8, exec_lo
	s_delay_alu instid0(VALU_DEP_2) | instskip(NEXT) | instid1(VALU_DEP_1)
	v_cndmask_b32_e64 v5, v5, 0xffffff82, vcc_lo
	v_add3_u32 v47, v75, v5, v47
	v_and_b32_e32 v5, 0xfffff, v46
                                        ; implicit-def: $vgpr46
	s_delay_alu instid0(VALU_DEP_1) | instskip(SKIP_1) | instid1(VALU_DEP_2)
	v_dual_add_nc_u32 v74, 6, v47 :: v_dual_add_nc_u32 v4, v5, v4
	v_mov_b32_e32 v5, v55
	v_cmpx_ne_u32_e32 0, v74
	s_xor_b32 s8, exec_lo, s8
; %bb.227:                              ;   in Loop: Header=BB0_129 Depth=3
	s_delay_alu instid0(VALU_DEP_2) | instskip(SKIP_2) | instid1(VALU_DEP_2)
	v_cmp_lt_u64_e32 vcc_lo, 0xffffff, v[4:5]
	v_add_nc_u32_e32 v46, 7, v47
	v_cndmask_b32_e64 v47, 0, 1, vcc_lo
	v_cndmask_b32_e32 v46, v74, v46, vcc_lo
	s_delay_alu instid0(VALU_DEP_2)
	v_lshrrev_b64 v[4:5], v47, v[4:5]
; %bb.228:                              ;   in Loop: Header=BB0_129 Depth=3
	s_and_not1_saveexec_b32 s8, s8
; %bb.229:                              ;   in Loop: Header=BB0_129 Depth=3
	s_delay_alu instid0(VALU_DEP_1)
	v_bfe_u32 v46, v4, 23, 1
; %bb.230:                              ;   in Loop: Header=BB0_129 Depth=3
	s_or_b32 exec_lo, exec_lo, s8
	s_delay_alu instid0(VALU_DEP_2) | instskip(NEXT) | instid1(VALU_DEP_2)
	v_lshrrev_b64 v[4:5], 20, v[4:5]
	v_cmp_gt_i32_e32 vcc_lo, 16, v46
	v_min_i32_e32 v47, 15, v46
	v_cmp_eq_u32_e64 s8, 0, v46
	s_delay_alu instid0(VALU_DEP_2) | instskip(SKIP_1) | instid1(VALU_DEP_2)
	v_dual_cndmask_b32 v5, 0, v5, vcc_lo :: v_dual_lshlrev_b32 v47, 3, v47
	v_cndmask_b32_e32 v4, 7, v4, vcc_lo
	v_and_b32_e32 v47, 0xf8, v47
	s_delay_alu instid0(VALU_DEP_2) | instskip(NEXT) | instid1(VALU_DEP_2)
	v_cmp_eq_u64_e32 vcc_lo, 0, v[4:5]
	v_and_or_b32 v4, v4, 7, v47
	s_and_b32 s8, s8, vcc_lo
	s_delay_alu instid0(VALU_DEP_1) | instid1(SALU_CYCLE_1)
	v_cndmask_b32_e64 v4, v4, 0, s8
	s_delay_alu instid0(VALU_DEP_1)
	v_or_b32_e32 v46, v4, v17
.LBB0_231:                              ;   in Loop: Header=BB0_129 Depth=3
	s_or_b32 exec_lo, exec_lo, s21
                                        ; implicit-def: $vgpr17
.LBB0_232:                              ;   in Loop: Header=BB0_129 Depth=3
	s_and_not1_saveexec_b32 s8, s20
; %bb.233:                              ;   in Loop: Header=BB0_129 Depth=3
	v_or_b32_e32 v46, 0x7e, v17
; %bb.234:                              ;   in Loop: Header=BB0_129 Depth=3
	s_or_b32 exec_lo, exec_lo, s8
                                        ; implicit-def: $vgpr5
.LBB0_235:                              ;   in Loop: Header=BB0_129 Depth=3
	s_and_not1_saveexec_b32 s8, s19
; %bb.236:                              ;   in Loop: Header=BB0_129 Depth=3
	v_or_b32_e32 v46, 0x7f, v5
; %bb.237:                              ;   in Loop: Header=BB0_129 Depth=3
	s_or_b32 exec_lo, exec_lo, s8
	v_dual_mov_b32 v17, 0 :: v_dual_mov_b32 v4, 0
	s_mov_b32 s8, exec_lo
	v_cmpx_lt_u32_e32 0xffffff, v16
	s_cbranch_execz .LBB0_245
; %bb.238:                              ;   in Loop: Header=BB0_129 Depth=3
	v_lshrrev_b32_e32 v47, 24, v16
	v_bfrev_b32_e32 v4, 1
	s_mov_b32 s19, exec_lo
	s_delay_alu instid0(VALU_DEP_2)
	v_cmpx_ne_u32_e32 0x80, v47
	s_cbranch_execz .LBB0_244
; %bb.239:                              ;   in Loop: Header=BB0_129 Depth=3
	v_bfe_u32 v74, v16, 24, 7
	v_mov_b32_e32 v4, 0x7f800001
	s_mov_b32 s20, exec_lo
	s_delay_alu instid0(VALU_DEP_2)
	v_cmpx_ne_u32_e32 0x7f, v74
	s_cbranch_execz .LBB0_243
; %bb.240:                              ;   in Loop: Header=BB0_129 Depth=3
	v_dual_mov_b32 v5, v55 :: v_dual_bitop2_b32 v4, 7, v47 bitop3:0x40
	v_lshrrev_b32_e32 v16, 3, v74
	s_mov_b32 s21, exec_lo
	v_cmpx_gt_u32_e32 8, v74
; %bb.241:                              ;   in Loop: Header=BB0_129 Depth=3
	s_delay_alu instid0(VALU_DEP_3) | instskip(NEXT) | instid1(VALU_DEP_1)
	v_clz_i32_u32_e32 v16, v4
	v_min_u32_e32 v16, 32, v16
	s_delay_alu instid0(VALU_DEP_1) | instskip(SKIP_1) | instid1(VALU_DEP_2)
	v_subrev_nc_u32_e32 v74, 28, v16
	v_sub_nc_u32_e32 v16, 29, v16
	v_lshlrev_b64_e32 v[4:5], v74, v[4:5]
	s_delay_alu instid0(VALU_DEP_1)
	v_and_b32_e32 v4, 7, v4
; %bb.242:                              ;   in Loop: Header=BB0_129 Depth=3
	s_or_b32 exec_lo, exec_lo, s21
	s_delay_alu instid0(VALU_DEP_1) | instskip(SKIP_1) | instid1(VALU_DEP_2)
	v_dual_lshlrev_b32 v5, 24, v47 :: v_dual_lshlrev_b32 v4, 20, v4
	v_lshl_add_u32 v16, v16, 23, 0x3c000000
	v_and_b32_e32 v5, 0x80000000, v5
	s_delay_alu instid0(VALU_DEP_1)
	v_or3_b32 v4, v4, v5, v16
.LBB0_243:                              ;   in Loop: Header=BB0_129 Depth=3
	s_or_b32 exec_lo, exec_lo, s20
.LBB0_244:                              ;   in Loop: Header=BB0_129 Depth=3
	s_delay_alu instid0(SALU_CYCLE_1)
	s_or_b32 exec_lo, exec_lo, s19
.LBB0_245:                              ;   in Loop: Header=BB0_129 Depth=3
	s_delay_alu instid0(SALU_CYCLE_1) | instskip(NEXT) | instid1(SALU_CYCLE_1)
	s_or_b32 exec_lo, exec_lo, s8
	s_mov_b32 s8, exec_lo
	v_cmpx_lt_u32_e32 0xffffff, v54
	s_cbranch_execz .LBB0_253
; %bb.246:                              ;   in Loop: Header=BB0_129 Depth=3
	v_lshrrev_b32_e32 v5, 24, v54
	v_bfrev_b32_e32 v17, 1
	s_mov_b32 s19, exec_lo
	s_delay_alu instid0(VALU_DEP_2)
	v_cmpx_ne_u32_e32 0x80, v5
	s_cbranch_execz .LBB0_252
; %bb.247:                              ;   in Loop: Header=BB0_129 Depth=3
	v_bfe_u32 v47, v54, 24, 7
	v_mov_b32_e32 v17, 0x7f800001
	s_mov_b32 s20, exec_lo
	s_delay_alu instid0(VALU_DEP_2)
	v_cmpx_ne_u32_e32 0x7f, v47
	s_cbranch_execz .LBB0_251
; %bb.248:                              ;   in Loop: Header=BB0_129 Depth=3
	v_dual_lshrrev_b32 v16, 3, v47 :: v_dual_bitop2_b32 v54, 7, v5 bitop3:0x40
	s_mov_b32 s21, exec_lo
	v_cmpx_gt_u32_e32 8, v47
; %bb.249:                              ;   in Loop: Header=BB0_129 Depth=3
	s_delay_alu instid0(VALU_DEP_2) | instskip(NEXT) | instid1(VALU_DEP_1)
	v_clz_i32_u32_e32 v16, v54
	v_min_u32_e32 v16, 32, v16
	s_delay_alu instid0(VALU_DEP_1) | instskip(NEXT) | instid1(VALU_DEP_1)
	v_subrev_nc_u32_e32 v17, 28, v16
	v_lshlrev_b64_e32 v[74:75], v17, v[54:55]
	s_delay_alu instid0(VALU_DEP_1)
	v_dual_sub_nc_u32 v16, 29, v16 :: v_dual_bitop2_b32 v54, 7, v74 bitop3:0x40
; %bb.250:                              ;   in Loop: Header=BB0_129 Depth=3
	s_or_b32 exec_lo, exec_lo, s21
	s_delay_alu instid0(VALU_DEP_1) | instskip(NEXT) | instid1(VALU_DEP_2)
	v_dual_lshlrev_b32 v5, 24, v5 :: v_dual_lshlrev_b32 v17, 20, v54
	v_lshl_add_u32 v16, v16, 23, 0x3c000000
	s_delay_alu instid0(VALU_DEP_2) | instskip(NEXT) | instid1(VALU_DEP_1)
	v_and_b32_e32 v5, 0x80000000, v5
	v_or3_b32 v17, v17, v5, v16
.LBB0_251:                              ;   in Loop: Header=BB0_129 Depth=3
	s_or_b32 exec_lo, exec_lo, s20
.LBB0_252:                              ;   in Loop: Header=BB0_129 Depth=3
	s_delay_alu instid0(SALU_CYCLE_1)
	s_or_b32 exec_lo, exec_lo, s19
.LBB0_253:                              ;   in Loop: Header=BB0_129 Depth=3
	s_delay_alu instid0(SALU_CYCLE_1) | instskip(NEXT) | instid1(VALU_DEP_1)
	s_or_b32 exec_lo, exec_lo, s8
	v_add_f32_e32 v4, v4, v17
                                        ; implicit-def: $vgpr47
	s_mov_b32 s8, exec_lo
	s_delay_alu instid0(VALU_DEP_1) | instskip(SKIP_1) | instid1(VALU_DEP_2)
	v_and_b32_e32 v54, 0x7f800000, v4
	v_lshrrev_b32_e32 v5, 24, v4
	v_cmpx_ne_u64_e32 0x7f800000, v[54:55]
	s_xor_b32 s19, exec_lo, s8
	s_cbranch_execz .LBB0_267
; %bb.254:                              ;   in Loop: Header=BB0_129 Depth=3
	v_and_b32_e32 v54, 0x7fffffff, v4
	v_and_b32_e32 v74, 0x80, v5
                                        ; implicit-def: $vgpr47
	s_mov_b32 s8, exec_lo
	s_delay_alu instid0(VALU_DEP_2)
	v_cmpx_gt_u64_e32 0x43e00001, v[54:55]
	s_xor_b32 s20, exec_lo, s8
	s_cbranch_execz .LBB0_264
; %bb.255:                              ;   in Loop: Header=BB0_129 Depth=3
	v_mov_b32_e32 v47, 0
	s_mov_b32 s21, exec_lo
	v_cmpx_ne_u32_e32 0, v4
	s_cbranch_execz .LBB0_263
; %bb.256:                              ;   in Loop: Header=BB0_129 Depth=3
	v_bfe_u32 v47, v4, 23, 8
	v_and_b32_e32 v16, 0x7fffff, v4
	s_delay_alu instid0(VALU_DEP_2) | instskip(NEXT) | instid1(VALU_DEP_2)
	v_cmp_gt_u32_e32 vcc_lo, 0x7a, v47
	v_or_b32_e32 v17, 0x800000, v16
	v_sub_nc_u32_e32 v5, 0x79, v47
	s_delay_alu instid0(VALU_DEP_1) | instskip(SKIP_1) | instid1(VALU_DEP_2)
	v_cndmask_b32_e32 v5, 0, v5, vcc_lo
	v_cmp_eq_u32_e32 vcc_lo, 0, v47
	v_cndmask_b32_e64 v75, v5, 0x78, vcc_lo
	s_delay_alu instid0(VALU_DEP_1) | instskip(SKIP_1) | instid1(VALU_DEP_2)
	v_dual_cndmask_b32 v54, v17, v16, vcc_lo :: v_dual_add_nc_u32 v4, 20, v75
	v_add_nc_u32_e32 v76, 19, v75
	v_lshlrev_b64_e64 v[4:5], v4, -1
	s_delay_alu instid0(VALU_DEP_2) | instskip(NEXT) | instid1(VALU_DEP_2)
	v_lshlrev_b64_e64 v[16:17], v76, 1
	v_bfi_b32 v77, v5, 0, 0
	s_delay_alu instid0(VALU_DEP_3) | instskip(SKIP_1) | instid1(VALU_DEP_2)
	v_bfi_b32 v76, v4, 0, v54
	v_lshrrev_b64 v[4:5], v75, v[54:55]
	v_cmp_eq_u64_e64 s8, v[76:77], v[16:17]
	s_delay_alu instid0(VALU_DEP_2)
	v_mov_b64_e32 v[16:17], v[4:5]
	s_and_saveexec_b32 s22, s8
; %bb.257:                              ;   in Loop: Header=BB0_129 Depth=3
	v_bfe_u32 v54, v4, 20, 1
	s_delay_alu instid0(VALU_DEP_1) | instskip(NEXT) | instid1(VALU_DEP_1)
	v_add_nc_u64_e32 v[16:17], v[4:5], v[54:55]
	v_add_nc_u64_e32 v[16:17], -1, v[16:17]
; %bb.258:                              ;   in Loop: Header=BB0_129 Depth=3
	s_or_b32 exec_lo, exec_lo, s22
	v_add_nc_u32_e32 v5, 0xffffff81, v47
	v_lshrrev_b32_e32 v17, 23, v4
	s_mov_b32 s8, exec_lo
	s_delay_alu instid0(VALU_DEP_2) | instskip(NEXT) | instid1(VALU_DEP_1)
	v_cndmask_b32_e64 v5, v5, 0xffffff82, vcc_lo
	v_add3_u32 v17, v75, v5, v17
	v_and_b32_e32 v5, 0xfffff, v16
                                        ; implicit-def: $vgpr16
	s_delay_alu instid0(VALU_DEP_1) | instskip(NEXT) | instid1(VALU_DEP_1)
	v_dual_add_nc_u32 v47, 6, v17 :: v_dual_add_nc_u32 v54, v5, v4
                                        ; implicit-def: $vgpr4_vgpr5
	v_cmpx_ne_u32_e32 0, v47
	s_xor_b32 s8, exec_lo, s8
; %bb.259:                              ;   in Loop: Header=BB0_129 Depth=3
	s_delay_alu instid0(VALU_DEP_2) | instskip(SKIP_1) | instid1(VALU_DEP_1)
	v_cmp_lt_u64_e32 vcc_lo, 0xffffff, v[54:55]
	v_add_nc_u32_e32 v4, 7, v17
	v_cndmask_b32_e32 v16, v47, v4, vcc_lo
	v_cndmask_b32_e64 v4, 0, 1, vcc_lo
	s_delay_alu instid0(VALU_DEP_1)
	v_lshrrev_b64 v[4:5], v4, v[54:55]
; %bb.260:                              ;   in Loop: Header=BB0_129 Depth=3
	s_and_not1_saveexec_b32 s8, s8
; %bb.261:                              ;   in Loop: Header=BB0_129 Depth=3
	v_mov_b64_e32 v[4:5], v[54:55]
	v_bfe_u32 v16, v54, 23, 1
; %bb.262:                              ;   in Loop: Header=BB0_129 Depth=3
	s_or_b32 exec_lo, exec_lo, s8
	s_delay_alu instid0(VALU_DEP_2) | instskip(NEXT) | instid1(VALU_DEP_2)
	v_lshrrev_b64 v[4:5], 20, v[4:5]
	v_cmp_gt_i32_e32 vcc_lo, 16, v16
	v_min_i32_e32 v17, 15, v16
	v_cmp_eq_u32_e64 s8, 0, v16
	s_delay_alu instid0(VALU_DEP_4) | instskip(NEXT) | instid1(VALU_DEP_3)
	v_cndmask_b32_e32 v5, 0, v5, vcc_lo
	v_dual_cndmask_b32 v4, 7, v4 :: v_dual_lshlrev_b32 v17, 3, v17
	s_delay_alu instid0(VALU_DEP_1) | instskip(NEXT) | instid1(VALU_DEP_2)
	v_and_b32_e32 v17, 0xf8, v17
	v_cmp_eq_u64_e32 vcc_lo, 0, v[4:5]
	s_delay_alu instid0(VALU_DEP_2)
	v_and_or_b32 v4, v4, 7, v17
	s_and_b32 s8, s8, vcc_lo
	s_delay_alu instid0(VALU_DEP_1) | instid1(SALU_CYCLE_1)
	v_cndmask_b32_e64 v4, v4, 0, s8
	s_delay_alu instid0(VALU_DEP_1)
	v_or_b32_e32 v47, v4, v74
.LBB0_263:                              ;   in Loop: Header=BB0_129 Depth=3
	s_or_b32 exec_lo, exec_lo, s21
                                        ; implicit-def: $vgpr74
.LBB0_264:                              ;   in Loop: Header=BB0_129 Depth=3
	s_and_not1_saveexec_b32 s8, s20
; %bb.265:                              ;   in Loop: Header=BB0_129 Depth=3
	v_or_b32_e32 v47, 0x7e, v74
; %bb.266:                              ;   in Loop: Header=BB0_129 Depth=3
	s_or_b32 exec_lo, exec_lo, s8
                                        ; implicit-def: $vgpr5
.LBB0_267:                              ;   in Loop: Header=BB0_129 Depth=3
	s_and_not1_saveexec_b32 s8, s19
; %bb.268:                              ;   in Loop: Header=BB0_129 Depth=3
	v_or_b32_e32 v47, 0x7f, v5
; %bb.269:                              ;   in Loop: Header=BB0_129 Depth=3
	s_or_b32 exec_lo, exec_lo, s8
	v_and_b32_e32 v16, 0xff, v18
	v_dual_mov_b32 v4, 0 :: v_dual_mov_b32 v5, 0
	s_mov_b32 s8, exec_lo
	s_delay_alu instid0(VALU_DEP_2)
	v_cmpx_ne_u16_e32 0, v16
	s_cbranch_execz .LBB0_275
; %bb.270:                              ;   in Loop: Header=BB0_129 Depth=3
	v_bfrev_b32_e32 v5, 1
	s_mov_b32 s19, exec_lo
	v_cmpx_ne_u16_e32 0x80, v16
	s_cbranch_execz .LBB0_274
; %bb.271:                              ;   in Loop: Header=BB0_129 Depth=3
	v_and_b32_e32 v16, 0x7f, v18
	v_mov_b32_e32 v5, 0x7f800001
	s_mov_b32 s20, exec_lo
	s_delay_alu instid0(VALU_DEP_2)
	v_cmpx_ne_u32_e32 0x7f, v16
	s_cbranch_execz .LBB0_273
; %bb.272:                              ;   in Loop: Header=BB0_129 Depth=3
	v_dual_lshrrev_b32 v17, 3, v16 :: v_dual_bitop2_b32 v5, 7, v18 bitop3:0x40
	v_cmp_gt_u32_e32 vcc_lo, 8, v16
	s_delay_alu instid0(VALU_DEP_2) | instskip(NEXT) | instid1(VALU_DEP_1)
	v_clz_i32_u32_e32 v5, v5
	v_min_u32_e32 v5, 32, v5
	s_delay_alu instid0(VALU_DEP_1) | instskip(NEXT) | instid1(VALU_DEP_1)
	v_subrev_nc_u32_e32 v54, 28, v5
	v_dual_cndmask_b32 v16, 0, v54 :: v_dual_sub_nc_u32 v5, 29, v5
	s_delay_alu instid0(VALU_DEP_1) | instskip(NEXT) | instid1(VALU_DEP_2)
	v_cndmask_b32_e32 v5, v17, v5, vcc_lo
	v_lshlrev_b64_e32 v[16:17], v16, v[18:19]
	v_lshlrev_b32_e32 v17, 24, v18
	s_delay_alu instid0(VALU_DEP_3) | instskip(NEXT) | instid1(VALU_DEP_2)
	v_lshl_add_u32 v5, v5, 23, 0x3c000000
	v_and_b32_e32 v17, 0x80000000, v17
	s_delay_alu instid0(VALU_DEP_4) | instskip(NEXT) | instid1(VALU_DEP_1)
	v_lshlrev_b32_e32 v16, 20, v16
	v_and_b32_e32 v16, 0x700000, v16
	s_delay_alu instid0(VALU_DEP_1)
	v_or3_b32 v5, v16, v17, v5
.LBB0_273:                              ;   in Loop: Header=BB0_129 Depth=3
	s_or_b32 exec_lo, exec_lo, s20
.LBB0_274:                              ;   in Loop: Header=BB0_129 Depth=3
	s_delay_alu instid0(SALU_CYCLE_1)
	s_or_b32 exec_lo, exec_lo, s19
.LBB0_275:                              ;   in Loop: Header=BB0_129 Depth=3
	s_delay_alu instid0(SALU_CYCLE_1) | instskip(SKIP_2) | instid1(VALU_DEP_1)
	s_or_b32 exec_lo, exec_lo, s8
	v_alignbit_b32 v54, v63, v72, v73
	s_mov_b32 s8, exec_lo
	v_and_b32_e32 v16, 0xff, v54
	s_delay_alu instid0(VALU_DEP_1)
	v_cmpx_ne_u16_e32 0, v16
	s_cbranch_execz .LBB0_281
; %bb.276:                              ;   in Loop: Header=BB0_129 Depth=3
	v_bfrev_b32_e32 v4, 1
	s_mov_b32 s19, exec_lo
	v_cmpx_ne_u16_e32 0x80, v16
	s_cbranch_execz .LBB0_280
; %bb.277:                              ;   in Loop: Header=BB0_129 Depth=3
	v_and_b32_e32 v16, 0x7f, v54
	v_mov_b32_e32 v4, 0x7f800001
	s_mov_b32 s20, exec_lo
	s_delay_alu instid0(VALU_DEP_2)
	v_cmpx_ne_u32_e32 0x7f, v16
	s_cbranch_execz .LBB0_279
; %bb.278:                              ;   in Loop: Header=BB0_129 Depth=3
	v_dual_lshrrev_b32 v17, 3, v16 :: v_dual_bitop2_b32 v4, 7, v54 bitop3:0x40
	v_cmp_gt_u32_e32 vcc_lo, 8, v16
	s_delay_alu instid0(VALU_DEP_2) | instskip(NEXT) | instid1(VALU_DEP_1)
	v_clz_i32_u32_e32 v4, v4
	v_min_u32_e32 v4, 32, v4
	s_delay_alu instid0(VALU_DEP_1) | instskip(NEXT) | instid1(VALU_DEP_1)
	v_subrev_nc_u32_e32 v19, 28, v4
	v_dual_sub_nc_u32 v4, 29, v4 :: v_dual_cndmask_b32 v16, 0, v19, vcc_lo
	s_delay_alu instid0(VALU_DEP_1) | instskip(NEXT) | instid1(VALU_DEP_2)
	v_cndmask_b32_e32 v4, v17, v4, vcc_lo
	v_lshlrev_b64_e32 v[16:17], v16, v[54:55]
	v_lshlrev_b32_e32 v17, 24, v54
	s_delay_alu instid0(VALU_DEP_3) | instskip(NEXT) | instid1(VALU_DEP_2)
	v_lshl_add_u32 v4, v4, 23, 0x3c000000
	v_and_b32_e32 v17, 0x80000000, v17
	s_delay_alu instid0(VALU_DEP_4) | instskip(NEXT) | instid1(VALU_DEP_1)
	v_lshlrev_b32_e32 v16, 20, v16
	v_and_b32_e32 v16, 0x700000, v16
	s_delay_alu instid0(VALU_DEP_1)
	v_or3_b32 v4, v16, v17, v4
.LBB0_279:                              ;   in Loop: Header=BB0_129 Depth=3
	s_or_b32 exec_lo, exec_lo, s20
.LBB0_280:                              ;   in Loop: Header=BB0_129 Depth=3
	s_delay_alu instid0(SALU_CYCLE_1)
	s_or_b32 exec_lo, exec_lo, s19
.LBB0_281:                              ;   in Loop: Header=BB0_129 Depth=3
	s_delay_alu instid0(SALU_CYCLE_1) | instskip(NEXT) | instid1(VALU_DEP_1)
	s_or_b32 exec_lo, exec_lo, s8
	v_dual_add_f32 v4, v5, v4 :: v_dual_mov_b32 v17, v55
                                        ; implicit-def: $vgpr19
	s_mov_b32 s8, exec_lo
	s_delay_alu instid0(VALU_DEP_1) | instskip(SKIP_1) | instid1(VALU_DEP_2)
	v_and_b32_e32 v16, 0x7f800000, v4
	v_lshrrev_b32_e32 v5, 24, v4
	v_cmpx_ne_u64_e32 0x7f800000, v[16:17]
	s_xor_b32 s19, exec_lo, s8
	s_cbranch_execz .LBB0_295
; %bb.282:                              ;   in Loop: Header=BB0_129 Depth=3
	v_and_b32_e32 v16, 0x7fffffff, v4
	v_mov_b32_e32 v17, v55
	v_and_b32_e32 v63, 0x80, v5
                                        ; implicit-def: $vgpr19
	s_mov_b32 s8, exec_lo
	s_delay_alu instid0(VALU_DEP_2)
	v_cmpx_gt_u64_e32 0x43e00001, v[16:17]
	s_xor_b32 s20, exec_lo, s8
	s_cbranch_execz .LBB0_292
; %bb.283:                              ;   in Loop: Header=BB0_129 Depth=3
	v_mov_b32_e32 v19, 0
	s_mov_b32 s21, exec_lo
	v_cmpx_ne_u32_e32 0, v4
	s_cbranch_execz .LBB0_291
; %bb.284:                              ;   in Loop: Header=BB0_129 Depth=3
	v_bfe_u32 v19, v4, 23, 8
	v_and_b32_e32 v16, 0x7fffff, v4
	s_mov_b32 s22, exec_lo
	s_delay_alu instid0(VALU_DEP_2) | instskip(NEXT) | instid1(VALU_DEP_2)
	v_cmp_gt_u32_e32 vcc_lo, 0x7a, v19
	v_or_b32_e32 v17, 0x800000, v16
	v_sub_nc_u32_e32 v5, 0x79, v19
	s_delay_alu instid0(VALU_DEP_1) | instskip(SKIP_1) | instid1(VALU_DEP_2)
	v_cndmask_b32_e32 v5, 0, v5, vcc_lo
	v_cmp_eq_u32_e32 vcc_lo, 0, v19
	v_cndmask_b32_e64 v72, v5, 0x78, vcc_lo
	v_dual_cndmask_b32 v16, v17, v16 :: v_dual_mov_b32 v17, v55
	s_delay_alu instid0(VALU_DEP_2) | instskip(NEXT) | instid1(VALU_DEP_1)
	v_dual_add_nc_u32 v73, 19, v72 :: v_dual_add_nc_u32 v4, 20, v72
	v_lshlrev_b64_e64 v[74:75], v73, 1
	s_delay_alu instid0(VALU_DEP_2) | instskip(NEXT) | instid1(VALU_DEP_1)
	v_lshlrev_b64_e64 v[4:5], v4, -1
	v_bfi_b32 v77, v5, 0, 0
	s_delay_alu instid0(VALU_DEP_2) | instskip(SKIP_1) | instid1(VALU_DEP_1)
	v_bfi_b32 v76, v4, 0, v16
	v_lshrrev_b64 v[4:5], v72, v[16:17]
	v_mov_b64_e32 v[16:17], v[4:5]
	s_delay_alu instid0(VALU_DEP_3)
	v_cmpx_eq_u64_e64 v[76:77], v[74:75]
; %bb.285:                              ;   in Loop: Header=BB0_129 Depth=3
	v_bfe_u32 v16, v4, 20, 1
	v_mov_b32_e32 v17, v55
	s_delay_alu instid0(VALU_DEP_1) | instskip(NEXT) | instid1(VALU_DEP_1)
	v_add_nc_u64_e32 v[16:17], v[4:5], v[16:17]
	v_add_nc_u64_e32 v[16:17], -1, v[16:17]
; %bb.286:                              ;   in Loop: Header=BB0_129 Depth=3
	s_or_b32 exec_lo, exec_lo, s22
	v_add_nc_u32_e32 v5, 0xffffff81, v19
	v_lshrrev_b32_e32 v17, 23, v4
	s_mov_b32 s8, exec_lo
	s_delay_alu instid0(VALU_DEP_2) | instskip(NEXT) | instid1(VALU_DEP_1)
	v_cndmask_b32_e64 v5, v5, 0xffffff82, vcc_lo
	v_add3_u32 v17, v72, v5, v17
	v_and_b32_e32 v5, 0xfffff, v16
                                        ; implicit-def: $vgpr16
	s_delay_alu instid0(VALU_DEP_1) | instskip(SKIP_1) | instid1(VALU_DEP_2)
	v_dual_add_nc_u32 v19, 6, v17 :: v_dual_add_nc_u32 v4, v5, v4
	v_mov_b32_e32 v5, v55
	v_cmpx_ne_u32_e32 0, v19
	s_xor_b32 s8, exec_lo, s8
; %bb.287:                              ;   in Loop: Header=BB0_129 Depth=3
	s_delay_alu instid0(VALU_DEP_2) | instskip(SKIP_2) | instid1(VALU_DEP_2)
	v_cmp_lt_u64_e32 vcc_lo, 0xffffff, v[4:5]
	v_add_nc_u32_e32 v16, 7, v17
	v_cndmask_b32_e64 v17, 0, 1, vcc_lo
	v_cndmask_b32_e32 v16, v19, v16, vcc_lo
	s_delay_alu instid0(VALU_DEP_2)
	v_lshrrev_b64 v[4:5], v17, v[4:5]
; %bb.288:                              ;   in Loop: Header=BB0_129 Depth=3
	s_and_not1_saveexec_b32 s8, s8
; %bb.289:                              ;   in Loop: Header=BB0_129 Depth=3
	s_delay_alu instid0(VALU_DEP_1)
	v_bfe_u32 v16, v4, 23, 1
; %bb.290:                              ;   in Loop: Header=BB0_129 Depth=3
	s_or_b32 exec_lo, exec_lo, s8
	s_delay_alu instid0(VALU_DEP_2) | instskip(NEXT) | instid1(VALU_DEP_2)
	v_lshrrev_b64 v[4:5], 20, v[4:5]
	v_cmp_gt_i32_e32 vcc_lo, 16, v16
	v_min_i32_e32 v17, 15, v16
	v_cmp_eq_u32_e64 s8, 0, v16
	s_delay_alu instid0(VALU_DEP_4) | instskip(NEXT) | instid1(VALU_DEP_3)
	v_cndmask_b32_e32 v5, 0, v5, vcc_lo
	v_dual_cndmask_b32 v4, 7, v4 :: v_dual_lshlrev_b32 v17, 3, v17
	s_delay_alu instid0(VALU_DEP_1) | instskip(NEXT) | instid1(VALU_DEP_2)
	v_and_b32_e32 v17, 0xf8, v17
	v_cmp_eq_u64_e32 vcc_lo, 0, v[4:5]
	s_delay_alu instid0(VALU_DEP_2)
	v_and_or_b32 v4, v4, 7, v17
	s_and_b32 s8, s8, vcc_lo
	s_delay_alu instid0(VALU_DEP_1) | instid1(SALU_CYCLE_1)
	v_cndmask_b32_e64 v4, v4, 0, s8
	s_delay_alu instid0(VALU_DEP_1)
	v_or_b32_e32 v19, v4, v63
.LBB0_291:                              ;   in Loop: Header=BB0_129 Depth=3
	s_or_b32 exec_lo, exec_lo, s21
                                        ; implicit-def: $vgpr63
.LBB0_292:                              ;   in Loop: Header=BB0_129 Depth=3
	s_and_not1_saveexec_b32 s8, s20
; %bb.293:                              ;   in Loop: Header=BB0_129 Depth=3
	v_or_b32_e32 v19, 0x7e, v63
; %bb.294:                              ;   in Loop: Header=BB0_129 Depth=3
	s_or_b32 exec_lo, exec_lo, s8
                                        ; implicit-def: $vgpr5
.LBB0_295:                              ;   in Loop: Header=BB0_129 Depth=3
	s_and_not1_saveexec_b32 s8, s19
; %bb.296:                              ;   in Loop: Header=BB0_129 Depth=3
	v_or_b32_e32 v19, 0x7f, v5
; %bb.297:                              ;   in Loop: Header=BB0_129 Depth=3
	s_or_b32 exec_lo, exec_lo, s8
	v_lshrrev_b16 v4, 8, v18
	v_dual_mov_b32 v16, 0 :: v_dual_mov_b32 v17, 0
	s_mov_b32 s8, exec_lo
	s_delay_alu instid0(VALU_DEP_2)
	v_cmpx_ne_u16_e32 0, v4
	s_cbranch_execz .LBB0_305
; %bb.298:                              ;   in Loop: Header=BB0_129 Depth=3
	v_bfrev_b32_e32 v17, 1
	s_mov_b32 s19, exec_lo
	v_cmpx_ne_u16_e32 0x80, v4
	s_cbranch_execz .LBB0_304
; %bb.299:                              ;   in Loop: Header=BB0_129 Depth=3
	v_and_b32_e32 v4, 0xffff, v4
	v_mov_b32_e32 v17, 0x7f800001
	s_mov_b32 s20, exec_lo
	s_delay_alu instid0(VALU_DEP_2) | instskip(NEXT) | instid1(VALU_DEP_1)
	v_and_b32_e32 v63, 0x7f, v4
	v_cmpx_ne_u32_e32 0x7f, v63
	s_cbranch_execz .LBB0_303
; %bb.300:                              ;   in Loop: Header=BB0_129 Depth=3
	v_dual_mov_b32 v5, v55 :: v_dual_bitop2_b32 v4, 7, v4 bitop3:0x40
	v_lshrrev_b32_e32 v17, 3, v63
	s_mov_b32 s21, exec_lo
	v_cmpx_gt_u32_e32 8, v63
; %bb.301:                              ;   in Loop: Header=BB0_129 Depth=3
	s_delay_alu instid0(VALU_DEP_3) | instskip(NEXT) | instid1(VALU_DEP_1)
	v_clz_i32_u32_e32 v17, v4
	v_min_u32_e32 v17, 32, v17
	s_delay_alu instid0(VALU_DEP_1) | instskip(NEXT) | instid1(VALU_DEP_1)
	v_subrev_nc_u32_e32 v63, 28, v17
	v_lshlrev_b64_e32 v[4:5], v63, v[4:5]
	s_delay_alu instid0(VALU_DEP_1)
	v_dual_sub_nc_u32 v17, 29, v17 :: v_dual_bitop2_b32 v4, 7, v4 bitop3:0x40
; %bb.302:                              ;   in Loop: Header=BB0_129 Depth=3
	s_or_b32 exec_lo, exec_lo, s21
	s_delay_alu instid0(VALU_DEP_1) | instskip(NEXT) | instid1(VALU_DEP_2)
	v_dual_lshlrev_b32 v5, 16, v18 :: v_dual_lshlrev_b32 v4, 20, v4
	v_lshl_add_u32 v17, v17, 23, 0x3c000000
	s_delay_alu instid0(VALU_DEP_2) | instskip(NEXT) | instid1(VALU_DEP_1)
	v_and_b32_e32 v5, 0x80000000, v5
	v_or3_b32 v17, v4, v5, v17
.LBB0_303:                              ;   in Loop: Header=BB0_129 Depth=3
	s_or_b32 exec_lo, exec_lo, s20
.LBB0_304:                              ;   in Loop: Header=BB0_129 Depth=3
	s_delay_alu instid0(SALU_CYCLE_1)
	s_or_b32 exec_lo, exec_lo, s19
.LBB0_305:                              ;   in Loop: Header=BB0_129 Depth=3
	s_delay_alu instid0(SALU_CYCLE_1) | instskip(SKIP_2) | instid1(VALU_DEP_1)
	s_or_b32 exec_lo, exec_lo, s8
	v_lshrrev_b16 v4, 8, v54
	s_mov_b32 s8, exec_lo
	v_cmpx_ne_u16_e32 0, v4
	s_cbranch_execz .LBB0_313
; %bb.306:                              ;   in Loop: Header=BB0_129 Depth=3
	v_bfrev_b32_e32 v16, 1
	s_mov_b32 s19, exec_lo
	v_cmpx_ne_u16_e32 0x80, v4
	s_cbranch_execz .LBB0_312
; %bb.307:                              ;   in Loop: Header=BB0_129 Depth=3
	v_and_b32_e32 v4, 0xffff, v4
	v_mov_b32_e32 v16, 0x7f800001
	s_mov_b32 s20, exec_lo
	s_delay_alu instid0(VALU_DEP_2) | instskip(NEXT) | instid1(VALU_DEP_1)
	v_and_b32_e32 v63, 0x7f, v4
	v_cmpx_ne_u32_e32 0x7f, v63
	s_cbranch_execz .LBB0_311
; %bb.308:                              ;   in Loop: Header=BB0_129 Depth=3
	v_dual_mov_b32 v5, v55 :: v_dual_bitop2_b32 v4, 7, v4 bitop3:0x40
	v_lshrrev_b32_e32 v16, 3, v63
	s_mov_b32 s21, exec_lo
	v_cmpx_gt_u32_e32 8, v63
; %bb.309:                              ;   in Loop: Header=BB0_129 Depth=3
	s_delay_alu instid0(VALU_DEP_3) | instskip(NEXT) | instid1(VALU_DEP_1)
	v_clz_i32_u32_e32 v16, v4
	v_min_u32_e32 v16, 32, v16
	s_delay_alu instid0(VALU_DEP_1) | instskip(SKIP_1) | instid1(VALU_DEP_2)
	v_subrev_nc_u32_e32 v63, 28, v16
	v_sub_nc_u32_e32 v16, 29, v16
	v_lshlrev_b64_e32 v[4:5], v63, v[4:5]
	s_delay_alu instid0(VALU_DEP_1)
	v_and_b32_e32 v4, 7, v4
; %bb.310:                              ;   in Loop: Header=BB0_129 Depth=3
	s_or_b32 exec_lo, exec_lo, s21
	s_delay_alu instid0(VALU_DEP_1) | instskip(SKIP_1) | instid1(VALU_DEP_2)
	v_dual_lshlrev_b32 v5, 16, v54 :: v_dual_lshlrev_b32 v4, 20, v4
	v_lshl_add_u32 v16, v16, 23, 0x3c000000
	v_and_b32_e32 v5, 0x80000000, v5
	s_delay_alu instid0(VALU_DEP_1)
	v_or3_b32 v16, v4, v5, v16
.LBB0_311:                              ;   in Loop: Header=BB0_129 Depth=3
	s_or_b32 exec_lo, exec_lo, s20
.LBB0_312:                              ;   in Loop: Header=BB0_129 Depth=3
	s_delay_alu instid0(SALU_CYCLE_1)
	s_or_b32 exec_lo, exec_lo, s19
.LBB0_313:                              ;   in Loop: Header=BB0_129 Depth=3
	s_delay_alu instid0(SALU_CYCLE_1) | instskip(NEXT) | instid1(VALU_DEP_1)
	s_or_b32 exec_lo, exec_lo, s8
	v_dual_add_f32 v4, v17, v16 :: v_dual_mov_b32 v17, v55
                                        ; implicit-def: $vgpr63
	s_mov_b32 s8, exec_lo
	s_delay_alu instid0(VALU_DEP_1) | instskip(SKIP_1) | instid1(VALU_DEP_2)
	v_and_b32_e32 v16, 0x7f800000, v4
	v_lshrrev_b32_e32 v5, 24, v4
	v_cmpx_ne_u64_e32 0x7f800000, v[16:17]
	s_xor_b32 s19, exec_lo, s8
	s_cbranch_execz .LBB0_327
; %bb.314:                              ;   in Loop: Header=BB0_129 Depth=3
	v_and_b32_e32 v16, 0x7fffffff, v4
	v_mov_b32_e32 v17, v55
	v_and_b32_e32 v72, 0x80, v5
                                        ; implicit-def: $vgpr63
	s_mov_b32 s8, exec_lo
	s_delay_alu instid0(VALU_DEP_2)
	v_cmpx_gt_u64_e32 0x43e00001, v[16:17]
	s_xor_b32 s20, exec_lo, s8
	s_cbranch_execz .LBB0_324
; %bb.315:                              ;   in Loop: Header=BB0_129 Depth=3
	v_mov_b32_e32 v63, 0
	s_mov_b32 s21, exec_lo
	v_cmpx_ne_u32_e32 0, v4
	s_cbranch_execz .LBB0_323
; %bb.316:                              ;   in Loop: Header=BB0_129 Depth=3
	v_bfe_u32 v63, v4, 23, 8
	v_and_b32_e32 v16, 0x7fffff, v4
	s_mov_b32 s22, exec_lo
	s_delay_alu instid0(VALU_DEP_2) | instskip(NEXT) | instid1(VALU_DEP_2)
	v_cmp_gt_u32_e32 vcc_lo, 0x7a, v63
	v_or_b32_e32 v17, 0x800000, v16
	v_sub_nc_u32_e32 v5, 0x79, v63
	s_delay_alu instid0(VALU_DEP_1) | instskip(SKIP_1) | instid1(VALU_DEP_4)
	v_cndmask_b32_e32 v5, 0, v5, vcc_lo
	v_cmp_eq_u32_e32 vcc_lo, 0, v63
	v_dual_cndmask_b32 v16, v17, v16 :: v_dual_mov_b32 v17, v55
	s_delay_alu instid0(VALU_DEP_3) | instskip(NEXT) | instid1(VALU_DEP_1)
	v_cndmask_b32_e64 v73, v5, 0x78, vcc_lo
	v_dual_add_nc_u32 v4, 20, v73 :: v_dual_add_nc_u32 v74, 19, v73
	s_delay_alu instid0(VALU_DEP_1) | instskip(NEXT) | instid1(VALU_DEP_2)
	v_lshlrev_b64_e64 v[4:5], v4, -1
	v_lshlrev_b64_e64 v[74:75], v74, 1
	s_delay_alu instid0(VALU_DEP_2) | instskip(NEXT) | instid1(VALU_DEP_3)
	v_bfi_b32 v77, v5, 0, 0
	v_bfi_b32 v76, v4, 0, v16
	v_lshrrev_b64 v[4:5], v73, v[16:17]
	s_delay_alu instid0(VALU_DEP_1) | instskip(NEXT) | instid1(VALU_DEP_3)
	v_mov_b64_e32 v[16:17], v[4:5]
	v_cmpx_eq_u64_e64 v[76:77], v[74:75]
; %bb.317:                              ;   in Loop: Header=BB0_129 Depth=3
	v_bfe_u32 v16, v4, 20, 1
	v_mov_b32_e32 v17, v55
	s_delay_alu instid0(VALU_DEP_1) | instskip(NEXT) | instid1(VALU_DEP_1)
	v_add_nc_u64_e32 v[16:17], v[4:5], v[16:17]
	v_add_nc_u64_e32 v[16:17], -1, v[16:17]
; %bb.318:                              ;   in Loop: Header=BB0_129 Depth=3
	s_or_b32 exec_lo, exec_lo, s22
	v_add_nc_u32_e32 v5, 0xffffff81, v63
	v_lshrrev_b32_e32 v17, 23, v4
	s_mov_b32 s8, exec_lo
	s_delay_alu instid0(VALU_DEP_2) | instskip(NEXT) | instid1(VALU_DEP_1)
	v_cndmask_b32_e64 v5, v5, 0xffffff82, vcc_lo
	v_add3_u32 v17, v73, v5, v17
	v_and_b32_e32 v5, 0xfffff, v16
                                        ; implicit-def: $vgpr16
	s_delay_alu instid0(VALU_DEP_1) | instskip(SKIP_1) | instid1(VALU_DEP_2)
	v_dual_add_nc_u32 v63, 6, v17 :: v_dual_add_nc_u32 v4, v5, v4
	v_mov_b32_e32 v5, v55
	v_cmpx_ne_u32_e32 0, v63
	s_xor_b32 s8, exec_lo, s8
; %bb.319:                              ;   in Loop: Header=BB0_129 Depth=3
	s_delay_alu instid0(VALU_DEP_2) | instskip(SKIP_2) | instid1(VALU_DEP_2)
	v_cmp_lt_u64_e32 vcc_lo, 0xffffff, v[4:5]
	v_add_nc_u32_e32 v16, 7, v17
	v_cndmask_b32_e64 v17, 0, 1, vcc_lo
	v_cndmask_b32_e32 v16, v63, v16, vcc_lo
	s_delay_alu instid0(VALU_DEP_2)
	v_lshrrev_b64 v[4:5], v17, v[4:5]
; %bb.320:                              ;   in Loop: Header=BB0_129 Depth=3
	s_and_not1_saveexec_b32 s8, s8
; %bb.321:                              ;   in Loop: Header=BB0_129 Depth=3
	s_delay_alu instid0(VALU_DEP_1)
	v_bfe_u32 v16, v4, 23, 1
; %bb.322:                              ;   in Loop: Header=BB0_129 Depth=3
	s_or_b32 exec_lo, exec_lo, s8
	s_delay_alu instid0(VALU_DEP_2) | instskip(NEXT) | instid1(VALU_DEP_2)
	v_lshrrev_b64 v[4:5], 20, v[4:5]
	v_cmp_gt_i32_e32 vcc_lo, 16, v16
	v_min_i32_e32 v17, 15, v16
	v_cmp_eq_u32_e64 s8, 0, v16
	s_delay_alu instid0(VALU_DEP_4) | instskip(NEXT) | instid1(VALU_DEP_3)
	v_cndmask_b32_e32 v5, 0, v5, vcc_lo
	v_dual_cndmask_b32 v4, 7, v4 :: v_dual_lshlrev_b32 v17, 3, v17
	s_delay_alu instid0(VALU_DEP_1) | instskip(NEXT) | instid1(VALU_DEP_2)
	v_and_b32_e32 v17, 0xf8, v17
	v_cmp_eq_u64_e32 vcc_lo, 0, v[4:5]
	s_delay_alu instid0(VALU_DEP_2)
	v_and_or_b32 v4, v4, 7, v17
	s_and_b32 s8, s8, vcc_lo
	s_delay_alu instid0(VALU_DEP_1) | instid1(SALU_CYCLE_1)
	v_cndmask_b32_e64 v4, v4, 0, s8
	s_delay_alu instid0(VALU_DEP_1)
	v_or_b32_e32 v63, v4, v72
.LBB0_323:                              ;   in Loop: Header=BB0_129 Depth=3
	s_or_b32 exec_lo, exec_lo, s21
                                        ; implicit-def: $vgpr72
.LBB0_324:                              ;   in Loop: Header=BB0_129 Depth=3
	s_and_not1_saveexec_b32 s8, s20
; %bb.325:                              ;   in Loop: Header=BB0_129 Depth=3
	v_or_b32_e32 v63, 0x7e, v72
; %bb.326:                              ;   in Loop: Header=BB0_129 Depth=3
	s_or_b32 exec_lo, exec_lo, s8
                                        ; implicit-def: $vgpr5
.LBB0_327:                              ;   in Loop: Header=BB0_129 Depth=3
	s_and_not1_saveexec_b32 s8, s19
; %bb.328:                              ;   in Loop: Header=BB0_129 Depth=3
	v_or_b32_e32 v63, 0x7f, v5
; %bb.329:                              ;   in Loop: Header=BB0_129 Depth=3
	s_or_b32 exec_lo, exec_lo, s8
	v_dual_lshrrev_b32 v72, 16, v18 :: v_dual_mov_b32 v16, 0
	v_mov_b32_e32 v17, 0
	s_mov_b32 s8, exec_lo
	s_delay_alu instid0(VALU_DEP_2) | instskip(NEXT) | instid1(VALU_DEP_1)
	v_and_b32_e32 v4, 0xff, v72
	v_cmpx_ne_u16_e32 0, v4
	s_cbranch_execz .LBB0_337
; %bb.330:                              ;   in Loop: Header=BB0_129 Depth=3
	v_bfrev_b32_e32 v17, 1
	s_mov_b32 s19, exec_lo
	v_cmpx_ne_u16_e32 0x80, v4
	s_cbranch_execz .LBB0_336
; %bb.331:                              ;   in Loop: Header=BB0_129 Depth=3
	v_bfe_u32 v73, v18, 16, 7
	v_mov_b32_e32 v17, 0x7f800001
	s_mov_b32 s20, exec_lo
	s_delay_alu instid0(VALU_DEP_2)
	v_cmpx_ne_u32_e32 0x7f, v73
	s_cbranch_execz .LBB0_335
; %bb.332:                              ;   in Loop: Header=BB0_129 Depth=3
	v_dual_mov_b32 v5, v55 :: v_dual_bitop2_b32 v4, 7, v72 bitop3:0x40
	v_lshrrev_b32_e32 v17, 3, v73
	s_mov_b32 s21, exec_lo
	v_cmpx_gt_u32_e32 8, v73
; %bb.333:                              ;   in Loop: Header=BB0_129 Depth=3
	s_delay_alu instid0(VALU_DEP_3) | instskip(NEXT) | instid1(VALU_DEP_1)
	v_clz_i32_u32_e32 v17, v4
	v_min_u32_e32 v17, 32, v17
	s_delay_alu instid0(VALU_DEP_1) | instskip(NEXT) | instid1(VALU_DEP_1)
	v_subrev_nc_u32_e32 v73, 28, v17
	v_lshlrev_b64_e32 v[4:5], v73, v[4:5]
	s_delay_alu instid0(VALU_DEP_1)
	v_dual_sub_nc_u32 v17, 29, v17 :: v_dual_bitop2_b32 v4, 7, v4 bitop3:0x40
; %bb.334:                              ;   in Loop: Header=BB0_129 Depth=3
	s_or_b32 exec_lo, exec_lo, s21
	v_lshlrev_b32_e32 v5, 24, v72
	s_delay_alu instid0(VALU_DEP_2) | instskip(NEXT) | instid1(VALU_DEP_3)
	v_lshlrev_b32_e32 v4, 20, v4
	v_lshl_add_u32 v17, v17, 23, 0x3c000000
	s_delay_alu instid0(VALU_DEP_3) | instskip(NEXT) | instid1(VALU_DEP_1)
	v_and_b32_e32 v5, 0x80000000, v5
	v_or3_b32 v17, v4, v5, v17
.LBB0_335:                              ;   in Loop: Header=BB0_129 Depth=3
	s_or_b32 exec_lo, exec_lo, s20
.LBB0_336:                              ;   in Loop: Header=BB0_129 Depth=3
	s_delay_alu instid0(SALU_CYCLE_1)
	s_or_b32 exec_lo, exec_lo, s19
.LBB0_337:                              ;   in Loop: Header=BB0_129 Depth=3
	s_delay_alu instid0(SALU_CYCLE_1) | instskip(SKIP_2) | instid1(VALU_DEP_1)
	s_or_b32 exec_lo, exec_lo, s8
	v_lshrrev_b32_e32 v4, 16, v54
	s_mov_b32 s8, exec_lo
	v_and_b32_e32 v5, 0xff, v4
	s_delay_alu instid0(VALU_DEP_1)
	v_cmpx_ne_u16_e32 0, v5
	s_cbranch_execz .LBB0_345
; %bb.338:                              ;   in Loop: Header=BB0_129 Depth=3
	v_bfrev_b32_e32 v16, 1
	s_mov_b32 s19, exec_lo
	v_cmpx_ne_u16_e32 0x80, v5
	s_cbranch_execz .LBB0_344
; %bb.339:                              ;   in Loop: Header=BB0_129 Depth=3
	v_bfe_u32 v72, v54, 16, 7
	v_mov_b32_e32 v16, 0x7f800001
	s_mov_b32 s20, exec_lo
	s_delay_alu instid0(VALU_DEP_2)
	v_cmpx_ne_u32_e32 0x7f, v72
	s_cbranch_execz .LBB0_343
; %bb.340:                              ;   in Loop: Header=BB0_129 Depth=3
	v_dual_mov_b32 v5, v55 :: v_dual_bitop2_b32 v4, 7, v4 bitop3:0x40
	v_lshrrev_b32_e32 v16, 3, v72
	s_mov_b32 s21, exec_lo
	v_cmpx_gt_u32_e32 8, v72
; %bb.341:                              ;   in Loop: Header=BB0_129 Depth=3
	s_delay_alu instid0(VALU_DEP_3) | instskip(NEXT) | instid1(VALU_DEP_1)
	v_clz_i32_u32_e32 v16, v4
	v_min_u32_e32 v16, 32, v16
	s_delay_alu instid0(VALU_DEP_1) | instskip(SKIP_1) | instid1(VALU_DEP_2)
	v_subrev_nc_u32_e32 v72, 28, v16
	v_sub_nc_u32_e32 v16, 29, v16
	v_lshlrev_b64_e32 v[4:5], v72, v[4:5]
	s_delay_alu instid0(VALU_DEP_1)
	v_and_b32_e32 v4, 7, v4
; %bb.342:                              ;   in Loop: Header=BB0_129 Depth=3
	s_or_b32 exec_lo, exec_lo, s21
	s_delay_alu instid0(VALU_DEP_1) | instskip(SKIP_1) | instid1(VALU_DEP_2)
	v_dual_lshlrev_b32 v5, 8, v54 :: v_dual_lshlrev_b32 v4, 20, v4
	v_lshl_add_u32 v16, v16, 23, 0x3c000000
	v_and_b32_e32 v5, 0x80000000, v5
	s_delay_alu instid0(VALU_DEP_1)
	v_or3_b32 v16, v4, v5, v16
.LBB0_343:                              ;   in Loop: Header=BB0_129 Depth=3
	s_or_b32 exec_lo, exec_lo, s20
.LBB0_344:                              ;   in Loop: Header=BB0_129 Depth=3
	s_delay_alu instid0(SALU_CYCLE_1)
	s_or_b32 exec_lo, exec_lo, s19
.LBB0_345:                              ;   in Loop: Header=BB0_129 Depth=3
	s_delay_alu instid0(SALU_CYCLE_1) | instskip(NEXT) | instid1(VALU_DEP_1)
	s_or_b32 exec_lo, exec_lo, s8
	v_dual_add_f32 v4, v17, v16 :: v_dual_mov_b32 v17, v55
                                        ; implicit-def: $vgpr72
	s_mov_b32 s8, exec_lo
	s_delay_alu instid0(VALU_DEP_1) | instskip(SKIP_1) | instid1(VALU_DEP_2)
	v_and_b32_e32 v16, 0x7f800000, v4
	v_lshrrev_b32_e32 v5, 24, v4
	v_cmpx_ne_u64_e32 0x7f800000, v[16:17]
	s_xor_b32 s19, exec_lo, s8
	s_cbranch_execz .LBB0_359
; %bb.346:                              ;   in Loop: Header=BB0_129 Depth=3
	v_and_b32_e32 v16, 0x7fffffff, v4
	v_mov_b32_e32 v17, v55
	v_and_b32_e32 v73, 0x80, v5
                                        ; implicit-def: $vgpr72
	s_mov_b32 s8, exec_lo
	s_delay_alu instid0(VALU_DEP_2)
	v_cmpx_gt_u64_e32 0x43e00001, v[16:17]
	s_xor_b32 s20, exec_lo, s8
	s_cbranch_execz .LBB0_356
; %bb.347:                              ;   in Loop: Header=BB0_129 Depth=3
	v_mov_b32_e32 v72, 0
	s_mov_b32 s21, exec_lo
	v_cmpx_ne_u32_e32 0, v4
	s_cbranch_execz .LBB0_355
; %bb.348:                              ;   in Loop: Header=BB0_129 Depth=3
	v_bfe_u32 v72, v4, 23, 8
	v_and_b32_e32 v16, 0x7fffff, v4
	s_mov_b32 s22, exec_lo
	s_delay_alu instid0(VALU_DEP_2) | instskip(SKIP_1) | instid1(VALU_DEP_3)
	v_sub_nc_u32_e32 v5, 0x79, v72
	v_cmp_gt_u32_e32 vcc_lo, 0x7a, v72
	v_or_b32_e32 v17, 0x800000, v16
	s_delay_alu instid0(VALU_DEP_3) | instskip(SKIP_1) | instid1(VALU_DEP_2)
	v_cndmask_b32_e32 v5, 0, v5, vcc_lo
	v_cmp_eq_u32_e32 vcc_lo, 0, v72
	v_cndmask_b32_e64 v74, v5, 0x78, vcc_lo
	s_delay_alu instid0(VALU_DEP_4) | instskip(NEXT) | instid1(VALU_DEP_2)
	v_dual_cndmask_b32 v16, v17, v16 :: v_dual_mov_b32 v17, v55
	v_dual_add_nc_u32 v4, 20, v74 :: v_dual_add_nc_u32 v75, 19, v74
	s_delay_alu instid0(VALU_DEP_1) | instskip(NEXT) | instid1(VALU_DEP_2)
	v_lshlrev_b64_e64 v[4:5], v4, -1
	v_lshlrev_b64_e64 v[76:77], v75, 1
	s_delay_alu instid0(VALU_DEP_2) | instskip(NEXT) | instid1(VALU_DEP_3)
	v_bfi_b32 v79, v5, 0, 0
	v_bfi_b32 v78, v4, 0, v16
	v_lshrrev_b64 v[4:5], v74, v[16:17]
	s_delay_alu instid0(VALU_DEP_1) | instskip(NEXT) | instid1(VALU_DEP_3)
	v_mov_b64_e32 v[16:17], v[4:5]
	v_cmpx_eq_u64_e64 v[78:79], v[76:77]
; %bb.349:                              ;   in Loop: Header=BB0_129 Depth=3
	v_bfe_u32 v16, v4, 20, 1
	v_mov_b32_e32 v17, v55
	s_delay_alu instid0(VALU_DEP_1) | instskip(NEXT) | instid1(VALU_DEP_1)
	v_add_nc_u64_e32 v[16:17], v[4:5], v[16:17]
	v_add_nc_u64_e32 v[16:17], -1, v[16:17]
; %bb.350:                              ;   in Loop: Header=BB0_129 Depth=3
	s_or_b32 exec_lo, exec_lo, s22
	v_add_nc_u32_e32 v5, 0xffffff81, v72
	v_lshrrev_b32_e32 v17, 23, v4
	s_mov_b32 s8, exec_lo
	s_delay_alu instid0(VALU_DEP_2) | instskip(NEXT) | instid1(VALU_DEP_1)
	v_cndmask_b32_e64 v5, v5, 0xffffff82, vcc_lo
	v_add3_u32 v17, v74, v5, v17
	v_and_b32_e32 v5, 0xfffff, v16
                                        ; implicit-def: $vgpr16
	s_delay_alu instid0(VALU_DEP_1) | instskip(SKIP_1) | instid1(VALU_DEP_2)
	v_dual_add_nc_u32 v72, 6, v17 :: v_dual_add_nc_u32 v4, v5, v4
	v_mov_b32_e32 v5, v55
	v_cmpx_ne_u32_e32 0, v72
	s_xor_b32 s8, exec_lo, s8
; %bb.351:                              ;   in Loop: Header=BB0_129 Depth=3
	s_delay_alu instid0(VALU_DEP_2) | instskip(SKIP_2) | instid1(VALU_DEP_2)
	v_cmp_lt_u64_e32 vcc_lo, 0xffffff, v[4:5]
	v_add_nc_u32_e32 v16, 7, v17
	v_cndmask_b32_e64 v17, 0, 1, vcc_lo
	v_cndmask_b32_e32 v16, v72, v16, vcc_lo
	s_delay_alu instid0(VALU_DEP_2)
	v_lshrrev_b64 v[4:5], v17, v[4:5]
; %bb.352:                              ;   in Loop: Header=BB0_129 Depth=3
	s_and_not1_saveexec_b32 s8, s8
; %bb.353:                              ;   in Loop: Header=BB0_129 Depth=3
	s_delay_alu instid0(VALU_DEP_1)
	v_bfe_u32 v16, v4, 23, 1
; %bb.354:                              ;   in Loop: Header=BB0_129 Depth=3
	s_or_b32 exec_lo, exec_lo, s8
	s_delay_alu instid0(VALU_DEP_2) | instskip(NEXT) | instid1(VALU_DEP_2)
	v_lshrrev_b64 v[4:5], 20, v[4:5]
	v_cmp_gt_i32_e32 vcc_lo, 16, v16
	v_min_i32_e32 v17, 15, v16
	v_cmp_eq_u32_e64 s8, 0, v16
	s_delay_alu instid0(VALU_DEP_4) | instskip(NEXT) | instid1(VALU_DEP_3)
	v_cndmask_b32_e32 v5, 0, v5, vcc_lo
	v_dual_cndmask_b32 v4, 7, v4 :: v_dual_lshlrev_b32 v17, 3, v17
	s_delay_alu instid0(VALU_DEP_1) | instskip(NEXT) | instid1(VALU_DEP_2)
	v_and_b32_e32 v17, 0xf8, v17
	v_cmp_eq_u64_e32 vcc_lo, 0, v[4:5]
	s_delay_alu instid0(VALU_DEP_2)
	v_and_or_b32 v4, v4, 7, v17
	s_and_b32 s8, s8, vcc_lo
	s_delay_alu instid0(VALU_DEP_1) | instid1(SALU_CYCLE_1)
	v_cndmask_b32_e64 v4, v4, 0, s8
	s_delay_alu instid0(VALU_DEP_1)
	v_or_b32_e32 v72, v4, v73
.LBB0_355:                              ;   in Loop: Header=BB0_129 Depth=3
	s_or_b32 exec_lo, exec_lo, s21
                                        ; implicit-def: $vgpr73
.LBB0_356:                              ;   in Loop: Header=BB0_129 Depth=3
	s_and_not1_saveexec_b32 s8, s20
; %bb.357:                              ;   in Loop: Header=BB0_129 Depth=3
	v_or_b32_e32 v72, 0x7e, v73
; %bb.358:                              ;   in Loop: Header=BB0_129 Depth=3
	s_or_b32 exec_lo, exec_lo, s8
                                        ; implicit-def: $vgpr5
.LBB0_359:                              ;   in Loop: Header=BB0_129 Depth=3
	s_and_not1_saveexec_b32 s8, s19
; %bb.360:                              ;   in Loop: Header=BB0_129 Depth=3
	v_or_b32_e32 v72, 0x7f, v5
; %bb.361:                              ;   in Loop: Header=BB0_129 Depth=3
	s_or_b32 exec_lo, exec_lo, s8
	v_and_b32_e32 v4, 0xff000000, v18
	v_dual_mov_b32 v5, v55 :: v_dual_mov_b32 v16, 0
	s_delay_alu instid0(VALU_DEP_1)
	v_cmp_ne_u64_e32 vcc_lo, 0, v[4:5]
	v_mov_b32_e32 v4, 0
	s_and_saveexec_b32 s8, vcc_lo
	s_cbranch_execz .LBB0_369
; %bb.362:                              ;   in Loop: Header=BB0_129 Depth=3
	v_lshrrev_b32_e32 v17, 24, v18
	v_bfrev_b32_e32 v4, 1
	s_mov_b32 s19, exec_lo
	s_delay_alu instid0(VALU_DEP_2)
	v_cmpx_ne_u32_e32 0x80, v17
	s_cbranch_execz .LBB0_368
; %bb.363:                              ;   in Loop: Header=BB0_129 Depth=3
	v_bfe_u32 v73, v18, 24, 7
	v_mov_b32_e32 v4, 0x7f800001
	s_mov_b32 s20, exec_lo
	s_delay_alu instid0(VALU_DEP_2)
	v_cmpx_ne_u32_e32 0x7f, v73
	s_cbranch_execz .LBB0_367
; %bb.364:                              ;   in Loop: Header=BB0_129 Depth=3
	v_dual_mov_b32 v5, v55 :: v_dual_bitop2_b32 v4, 7, v17 bitop3:0x40
	v_lshrrev_b32_e32 v18, 3, v73
	s_mov_b32 s21, exec_lo
	v_cmpx_gt_u32_e32 8, v73
; %bb.365:                              ;   in Loop: Header=BB0_129 Depth=3
	s_delay_alu instid0(VALU_DEP_3) | instskip(NEXT) | instid1(VALU_DEP_1)
	v_clz_i32_u32_e32 v18, v4
	v_min_u32_e32 v18, 32, v18
	s_delay_alu instid0(VALU_DEP_1) | instskip(NEXT) | instid1(VALU_DEP_1)
	v_subrev_nc_u32_e32 v73, 28, v18
	v_lshlrev_b64_e32 v[4:5], v73, v[4:5]
	s_delay_alu instid0(VALU_DEP_1)
	v_dual_sub_nc_u32 v18, 29, v18 :: v_dual_bitop2_b32 v4, 7, v4 bitop3:0x40
; %bb.366:                              ;   in Loop: Header=BB0_129 Depth=3
	s_or_b32 exec_lo, exec_lo, s21
	s_delay_alu instid0(VALU_DEP_1) | instskip(NEXT) | instid1(VALU_DEP_2)
	v_dual_lshlrev_b32 v5, 24, v17 :: v_dual_lshlrev_b32 v4, 20, v4
	v_lshl_add_u32 v17, v18, 23, 0x3c000000
	s_delay_alu instid0(VALU_DEP_2) | instskip(NEXT) | instid1(VALU_DEP_1)
	v_and_b32_e32 v5, 0x80000000, v5
	v_or3_b32 v4, v4, v5, v17
.LBB0_367:                              ;   in Loop: Header=BB0_129 Depth=3
	s_or_b32 exec_lo, exec_lo, s20
.LBB0_368:                              ;   in Loop: Header=BB0_129 Depth=3
	s_delay_alu instid0(SALU_CYCLE_1)
	s_or_b32 exec_lo, exec_lo, s19
.LBB0_369:                              ;   in Loop: Header=BB0_129 Depth=3
	s_delay_alu instid0(SALU_CYCLE_1) | instskip(NEXT) | instid1(SALU_CYCLE_1)
	s_or_b32 exec_lo, exec_lo, s8
	s_mov_b32 s8, exec_lo
	v_cmpx_lt_u32_e32 0xffffff, v54
	s_cbranch_execz .LBB0_377
; %bb.370:                              ;   in Loop: Header=BB0_129 Depth=3
	v_lshrrev_b32_e32 v5, 24, v54
	v_bfrev_b32_e32 v16, 1
	s_mov_b32 s19, exec_lo
	s_delay_alu instid0(VALU_DEP_2)
	v_cmpx_ne_u32_e32 0x80, v5
	s_cbranch_execz .LBB0_376
; %bb.371:                              ;   in Loop: Header=BB0_129 Depth=3
	v_bfe_u32 v17, v54, 24, 7
	v_mov_b32_e32 v16, 0x7f800001
	s_mov_b32 s20, exec_lo
	s_delay_alu instid0(VALU_DEP_2)
	v_cmpx_ne_u32_e32 0x7f, v17
	s_cbranch_execz .LBB0_375
; %bb.372:                              ;   in Loop: Header=BB0_129 Depth=3
	v_and_b32_e32 v54, 7, v5
	v_lshrrev_b32_e32 v16, 3, v17
	s_mov_b32 s21, exec_lo
	v_cmpx_gt_u32_e32 8, v17
; %bb.373:                              ;   in Loop: Header=BB0_129 Depth=3
	s_delay_alu instid0(VALU_DEP_3) | instskip(NEXT) | instid1(VALU_DEP_1)
	v_clz_i32_u32_e32 v16, v54
	v_min_u32_e32 v16, 32, v16
	s_delay_alu instid0(VALU_DEP_1) | instskip(NEXT) | instid1(VALU_DEP_1)
	v_subrev_nc_u32_e32 v17, 28, v16
	v_lshlrev_b64_e32 v[74:75], v17, v[54:55]
	s_delay_alu instid0(VALU_DEP_1)
	v_dual_sub_nc_u32 v16, 29, v16 :: v_dual_bitop2_b32 v54, 7, v74 bitop3:0x40
; %bb.374:                              ;   in Loop: Header=BB0_129 Depth=3
	s_or_b32 exec_lo, exec_lo, s21
	s_delay_alu instid0(VALU_DEP_1) | instskip(NEXT) | instid1(VALU_DEP_2)
	v_dual_lshlrev_b32 v5, 24, v5 :: v_dual_lshlrev_b32 v17, 20, v54
	v_lshl_add_u32 v16, v16, 23, 0x3c000000
	s_delay_alu instid0(VALU_DEP_2) | instskip(NEXT) | instid1(VALU_DEP_1)
	v_and_b32_e32 v5, 0x80000000, v5
	v_or3_b32 v16, v17, v5, v16
.LBB0_375:                              ;   in Loop: Header=BB0_129 Depth=3
	s_or_b32 exec_lo, exec_lo, s20
.LBB0_376:                              ;   in Loop: Header=BB0_129 Depth=3
	s_delay_alu instid0(SALU_CYCLE_1)
	s_or_b32 exec_lo, exec_lo, s19
.LBB0_377:                              ;   in Loop: Header=BB0_129 Depth=3
	s_delay_alu instid0(SALU_CYCLE_1) | instskip(NEXT) | instid1(VALU_DEP_1)
	s_or_b32 exec_lo, exec_lo, s8
	v_add_f32_e32 v5, v4, v16
                                        ; implicit-def: $vgpr4
	s_mov_b32 s8, exec_lo
	s_delay_alu instid0(VALU_DEP_1) | instskip(SKIP_1) | instid1(VALU_DEP_2)
	v_and_b32_e32 v54, 0x7f800000, v5
	v_lshrrev_b32_e32 v16, 24, v5
	v_cmpx_ne_u64_e32 0x7f800000, v[54:55]
	s_xor_b32 s19, exec_lo, s8
	s_cbranch_execz .LBB0_391
; %bb.378:                              ;   in Loop: Header=BB0_129 Depth=3
	v_and_b32_e32 v54, 0x7fffffff, v5
	v_and_b32_e32 v18, 0x80, v16
                                        ; implicit-def: $vgpr4
	s_mov_b32 s8, exec_lo
	s_delay_alu instid0(VALU_DEP_2)
	v_cmpx_gt_u64_e32 0x43e00001, v[54:55]
	s_xor_b32 s20, exec_lo, s8
	s_cbranch_execz .LBB0_388
; %bb.379:                              ;   in Loop: Header=BB0_129 Depth=3
	v_mov_b32_e32 v4, 0
	s_mov_b32 s21, exec_lo
	v_cmpx_ne_u32_e32 0, v5
	s_cbranch_execz .LBB0_387
; %bb.380:                              ;   in Loop: Header=BB0_129 Depth=3
	v_bfe_u32 v73, v5, 23, 8
	v_and_b32_e32 v16, 0x7fffff, v5
	s_delay_alu instid0(VALU_DEP_2) | instskip(SKIP_1) | instid1(VALU_DEP_3)
	v_sub_nc_u32_e32 v4, 0x79, v73
	v_cmp_gt_u32_e32 vcc_lo, 0x7a, v73
	v_or_b32_e32 v17, 0x800000, v16
	s_delay_alu instid0(VALU_DEP_3) | instskip(SKIP_1) | instid1(VALU_DEP_2)
	v_cndmask_b32_e32 v4, 0, v4, vcc_lo
	v_cmp_eq_u32_e32 vcc_lo, 0, v73
	v_cndmask_b32_e64 v74, v4, 0x78, vcc_lo
	s_delay_alu instid0(VALU_DEP_1) | instskip(SKIP_1) | instid1(VALU_DEP_2)
	v_dual_cndmask_b32 v54, v17, v16, vcc_lo :: v_dual_add_nc_u32 v4, 20, v74
	v_add_nc_u32_e32 v75, 19, v74
	v_lshlrev_b64_e64 v[4:5], v4, -1
	s_delay_alu instid0(VALU_DEP_2) | instskip(NEXT) | instid1(VALU_DEP_2)
	v_lshlrev_b64_e64 v[16:17], v75, 1
	v_bfi_b32 v77, v5, 0, 0
	s_delay_alu instid0(VALU_DEP_3) | instskip(SKIP_1) | instid1(VALU_DEP_2)
	v_bfi_b32 v76, v4, 0, v54
	v_lshrrev_b64 v[4:5], v74, v[54:55]
	v_cmp_eq_u64_e64 s8, v[76:77], v[16:17]
	s_delay_alu instid0(VALU_DEP_2)
	v_mov_b64_e32 v[16:17], v[4:5]
	s_and_saveexec_b32 s22, s8
; %bb.381:                              ;   in Loop: Header=BB0_129 Depth=3
	v_bfe_u32 v54, v4, 20, 1
	s_delay_alu instid0(VALU_DEP_1) | instskip(NEXT) | instid1(VALU_DEP_1)
	v_add_nc_u64_e32 v[16:17], v[4:5], v[54:55]
	v_add_nc_u64_e32 v[16:17], -1, v[16:17]
; %bb.382:                              ;   in Loop: Header=BB0_129 Depth=3
	s_or_b32 exec_lo, exec_lo, s22
	v_add_nc_u32_e32 v5, 0xffffff81, v73
	v_lshrrev_b32_e32 v17, 23, v4
	s_mov_b32 s8, exec_lo
	s_delay_alu instid0(VALU_DEP_2) | instskip(NEXT) | instid1(VALU_DEP_1)
	v_cndmask_b32_e64 v5, v5, 0xffffff82, vcc_lo
	v_add3_u32 v17, v74, v5, v17
	v_and_b32_e32 v5, 0xfffff, v16
                                        ; implicit-def: $vgpr16
	s_delay_alu instid0(VALU_DEP_1) | instskip(NEXT) | instid1(VALU_DEP_1)
	v_dual_add_nc_u32 v73, 6, v17 :: v_dual_add_nc_u32 v54, v5, v4
                                        ; implicit-def: $vgpr4_vgpr5
	v_cmpx_ne_u32_e32 0, v73
	s_xor_b32 s8, exec_lo, s8
; %bb.383:                              ;   in Loop: Header=BB0_129 Depth=3
	s_delay_alu instid0(VALU_DEP_2) | instskip(SKIP_1) | instid1(VALU_DEP_1)
	v_cmp_lt_u64_e32 vcc_lo, 0xffffff, v[54:55]
	v_add_nc_u32_e32 v4, 7, v17
	v_cndmask_b32_e32 v16, v73, v4, vcc_lo
	v_cndmask_b32_e64 v4, 0, 1, vcc_lo
	s_delay_alu instid0(VALU_DEP_1)
	v_lshrrev_b64 v[4:5], v4, v[54:55]
; %bb.384:                              ;   in Loop: Header=BB0_129 Depth=3
	s_and_not1_saveexec_b32 s8, s8
; %bb.385:                              ;   in Loop: Header=BB0_129 Depth=3
	v_mov_b64_e32 v[4:5], v[54:55]
	v_bfe_u32 v16, v54, 23, 1
; %bb.386:                              ;   in Loop: Header=BB0_129 Depth=3
	s_or_b32 exec_lo, exec_lo, s8
	s_delay_alu instid0(VALU_DEP_2) | instskip(NEXT) | instid1(VALU_DEP_2)
	v_lshrrev_b64 v[4:5], 20, v[4:5]
	v_cmp_gt_i32_e32 vcc_lo, 16, v16
	v_min_i32_e32 v17, 15, v16
	v_cmp_eq_u32_e64 s8, 0, v16
	s_delay_alu instid0(VALU_DEP_4) | instskip(NEXT) | instid1(VALU_DEP_3)
	v_cndmask_b32_e32 v5, 0, v5, vcc_lo
	v_dual_cndmask_b32 v4, 7, v4 :: v_dual_lshlrev_b32 v17, 3, v17
	s_delay_alu instid0(VALU_DEP_1) | instskip(NEXT) | instid1(VALU_DEP_2)
	v_and_b32_e32 v17, 0xf8, v17
	v_cmp_eq_u64_e32 vcc_lo, 0, v[4:5]
	s_delay_alu instid0(VALU_DEP_2)
	v_and_or_b32 v4, v4, 7, v17
	s_and_b32 s8, s8, vcc_lo
	s_delay_alu instid0(VALU_DEP_1) | instid1(SALU_CYCLE_1)
	v_cndmask_b32_e64 v4, v4, 0, s8
	s_delay_alu instid0(VALU_DEP_1)
	v_or_b32_e32 v4, v4, v18
.LBB0_387:                              ;   in Loop: Header=BB0_129 Depth=3
	s_or_b32 exec_lo, exec_lo, s21
                                        ; implicit-def: $vgpr18
.LBB0_388:                              ;   in Loop: Header=BB0_129 Depth=3
	s_and_not1_saveexec_b32 s8, s20
; %bb.389:                              ;   in Loop: Header=BB0_129 Depth=3
	v_or_b32_e32 v4, 0x7e, v18
; %bb.390:                              ;   in Loop: Header=BB0_129 Depth=3
	s_or_b32 exec_lo, exec_lo, s8
                                        ; implicit-def: $vgpr16
.LBB0_391:                              ;   in Loop: Header=BB0_129 Depth=3
	s_and_not1_saveexec_b32 s8, s19
	s_cbranch_execz .LBB0_128
; %bb.392:                              ;   in Loop: Header=BB0_129 Depth=3
	v_or_b32_e32 v4, 0x7f, v16
	s_branch .LBB0_128
.LBB0_393:                              ;   in Loop: Header=BB0_85 Depth=2
	s_or_b32 exec_lo, exec_lo, s18
	s_delay_alu instid0(SALU_CYCLE_1)
	s_or_b32 exec_lo, exec_lo, s17
	s_and_saveexec_b32 s8, s3
	s_cbranch_execz .LBB0_122
.LBB0_394:                              ;   in Loop: Header=BB0_85 Depth=2
	s_and_saveexec_b32 s17, s4
	s_delay_alu instid0(SALU_CYCLE_1)
	s_xor_b32 s17, exec_lo, s17
	s_cbranch_execz .LBB0_409
; %bb.395:                              ;   in Loop: Header=BB0_85 Depth=2
	s_and_saveexec_b32 s18, s5
	s_cbranch_execz .LBB0_408
; %bb.396:                              ;   in Loop: Header=BB0_85 Depth=2
	s_mov_b32 s20, exec_lo
	s_mov_b32 s19, exec_lo
	v_mbcnt_lo_u32_b32 v2, s20, 0
	global_wb scope:SCOPE_DEV
	s_wait_storecnt 0x0
	s_wait_loadcnt_dscnt 0x0
	global_inv scope:SCOPE_DEV
	v_cmpx_eq_u32_e32 0, v2
	s_cbranch_execz .LBB0_398
; %bb.397:                              ;   in Loop: Header=BB0_85 Depth=2
	s_bcnt1_i32_b32 s20, s20
	s_delay_alu instid0(SALU_CYCLE_1)
	v_mov_b32_e32 v54, s20
	s_wait_loadcnt 0x0
	ds_add_u64 v0, v[54:55]
	s_trap 2
.LBB0_398:                              ;   in Loop: Header=BB0_85 Depth=2
	s_or_b32 exec_lo, exec_lo, s19
	s_trap 2
	ds_load_b64 v[4:5], v0
	s_wait_dscnt 0x0
	v_add_nc_u64_e32 v[52:53], v[52:53], v[84:85]
	s_mov_b32 s19, exec_lo
	s_delay_alu instid0(VALU_DEP_1)
	v_cmpx_lt_u64_e64 v[4:5], v[52:53]
	s_cbranch_execz .LBB0_407
; %bb.399:                              ;   in Loop: Header=BB0_85 Depth=2
	s_mov_b32 s20, 0
	s_mov_b32 s23, 0
                                        ; implicit-def: $sgpr21
                                        ; implicit-def: $sgpr22
	s_branch .LBB0_401
.LBB0_400:                              ;   in Loop: Header=BB0_401 Depth=3
	s_or_b32 exec_lo, exec_lo, s25
	s_delay_alu instid0(SALU_CYCLE_1) | instskip(NEXT) | instid1(SALU_CYCLE_1)
	s_and_b32 s24, exec_lo, s26
	s_or_b32 s20, s24, s20
	s_and_not1_b32 s21, s21, exec_lo
	s_and_b32 s24, s22, exec_lo
	s_delay_alu instid0(SALU_CYCLE_1)
	s_or_b32 s21, s21, s24
	s_and_not1_b32 exec_lo, exec_lo, s20
	s_cbranch_execz .LBB0_405
.LBB0_401:                              ;   Parent Loop BB0_36 Depth=1
                                        ;     Parent Loop BB0_85 Depth=2
                                        ; =>    This Inner Loop Header: Depth=3
	s_add_co_i32 s23, s23, 1
	s_delay_alu instid0(SALU_CYCLE_1) | instskip(SKIP_1) | instid1(SALU_CYCLE_1)
	s_cmp_lg_u32 s23, 0x2710
	s_cselect_b32 s24, -1, 0
	s_and_b32 vcc_lo, exec_lo, s24
	s_cbranch_vccz .LBB0_403
; %bb.402:                              ;   in Loop: Header=BB0_401 Depth=3
	s_mov_b32 s26, -1
	s_or_b32 s22, s22, exec_lo
	s_and_saveexec_b32 s25, s24
	s_cbranch_execz .LBB0_400
	s_branch .LBB0_404
.LBB0_403:                              ;   in Loop: Header=BB0_401 Depth=3
	s_trap 2
	ds_load_b64 v[4:5], v0
	s_and_not1_b32 s24, s24, exec_lo
	s_mov_b32 s23, 0
	s_wait_loadcnt_dscnt 0x0
	flat_load_b32 v2, v[4:5] scope:SCOPE_SYS
	s_wait_loadcnt_dscnt 0x0
	global_inv scope:SCOPE_SYS
	v_cmp_eq_u32_e32 vcc_lo, 0, v2
	s_and_b32 s25, vcc_lo, exec_lo
	s_delay_alu instid0(SALU_CYCLE_1)
	s_or_b32 s24, s24, s25
	s_mov_b32 s26, -1
	s_or_b32 s22, s22, exec_lo
	s_and_saveexec_b32 s25, s24
	s_cbranch_execz .LBB0_400
.LBB0_404:                              ;   in Loop: Header=BB0_401 Depth=3
	s_sleep 1
	s_trap 2
	ds_load_b64 v[4:5], v0
	s_wait_dscnt 0x0
	s_and_not1_b32 s22, s22, exec_lo
	v_cmp_ge_u64_e32 vcc_lo, v[4:5], v[52:53]
	s_or_not1_b32 s26, vcc_lo, exec_lo
	s_branch .LBB0_400
.LBB0_405:                              ;   in Loop: Header=BB0_85 Depth=2
	s_or_b32 exec_lo, exec_lo, s20
	s_and_saveexec_b32 s20, s21
	s_delay_alu instid0(SALU_CYCLE_1)
	s_xor_b32 s20, exec_lo, s20
	s_cbranch_execz .LBB0_407
; %bb.406:                              ;   in Loop: Header=BB0_85 Depth=2
	ds_store_b32 v0, v1
	s_trap 2
.LBB0_407:                              ;   in Loop: Header=BB0_85 Depth=2
	s_or_b32 exec_lo, exec_lo, s19
	;;#ASMSTART
	s_wakeup
	;;#ASMEND
.LBB0_408:                              ;   in Loop: Header=BB0_85 Depth=2
	s_or_b32 exec_lo, exec_lo, s18
.LBB0_409:                              ;   in Loop: Header=BB0_85 Depth=2
	s_and_not1_saveexec_b32 s17, s17
	s_cbranch_execz .LBB0_411
; %bb.410:                              ;   in Loop: Header=BB0_85 Depth=2
	global_wb scope:SCOPE_DEV
	s_wait_storecnt 0x0
	s_wait_loadcnt_dscnt 0x0
	global_inv scope:SCOPE_DEV
	s_barrier_signal -1
	s_barrier_wait -1
.LBB0_411:                              ;   in Loop: Header=BB0_85 Depth=2
	s_or_b32 exec_lo, exec_lo, s17
	s_delay_alu instid0(SALU_CYCLE_1)
	s_or_b32 exec_lo, exec_lo, s8
	s_and_saveexec_b32 s8, s6
	s_cbranch_execnz .LBB0_123
	s_branch .LBB0_124
.LBB0_412:                              ;   in Loop: Header=BB0_36 Depth=1
	s_delay_alu instid0(VALU_DEP_1)
	v_mov_b64_e32 v[16:17], v[114:115]
	s_and_saveexec_b32 s8, s7
	s_cbranch_execnz .LBB0_415
; %bb.413:                              ;   in Loop: Header=BB0_36 Depth=1
	s_or_b32 exec_lo, exec_lo, s8
	s_and_saveexec_b32 s7, s3
	s_cbranch_execnz .LBB0_700
.LBB0_414:                              ;   in Loop: Header=BB0_36 Depth=1
	s_or_b32 exec_lo, exec_lo, s7
	s_and_saveexec_b32 s7, s6
	s_cbranch_execz .LBB0_35
	s_branch .LBB0_718
.LBB0_415:                              ;   in Loop: Header=BB0_36 Depth=1
	s_wait_loadcnt_dscnt 0x0
	flat_load_b32 v4, v[22:23]
	v_add_nc_u64_e32 v[2:3], v[10:11], v[112:113]
	v_dual_mov_b32 v116, v0 :: v_dual_bitop2_b32 v5, 7, v34 bitop3:0x40
	s_mov_b32 s16, 0
	v_add_nc_u32_e32 v42, 1, v34
	s_wait_loadcnt_dscnt 0x0
	s_delay_alu instid0(VALU_DEP_3) | instskip(SKIP_1) | instid1(VALU_DEP_2)
	v_mad_nc_u64_u32 v[2:3], v68, v4, v[2:3]
	v_ashrrev_i32_e32 v18, 31, v4
	v_mad_u32 v3, v69, v4, v3
	v_mul_lo_u32 v4, v5, s13
	s_delay_alu instid0(VALU_DEP_2) | instskip(NEXT) | instid1(VALU_DEP_2)
	v_mad_u32 v3, v68, v18, v3
	v_ashrrev_i32_e32 v5, 31, v4
	v_add_nc_u64_e32 v[18:19], v[8:9], v[112:113]
	s_delay_alu instid0(VALU_DEP_2) | instskip(NEXT) | instid1(VALU_DEP_4)
	v_lshl_add_u64 v[114:115], v[4:5], 4, v[32:33]
	v_add_nc_u64_e32 v[112:113], v[2:3], v[82:83]
	s_branch .LBB0_417
.LBB0_416:                              ;   in Loop: Header=BB0_417 Depth=2
	v_dual_sub_nc_u32 v57, v57, v86 :: v_dual_add_nc_u32 v116, v116, v20
	v_add_nc_u64_e32 v[112:113], v[112:113], v[86:87]
	s_wait_xcnt 0x0
	v_add_nc_u64_e32 v[18:19], v[18:19], v[86:87]
	s_delay_alu instid0(VALU_DEP_3) | instskip(SKIP_1) | instid1(SALU_CYCLE_1)
	v_cmp_gt_i32_e32 vcc_lo, 1, v57
	s_or_b32 s16, vcc_lo, s16
	s_and_not1_b32 exec_lo, exec_lo, s16
	s_cbranch_execz .LBB0_699
.LBB0_417:                              ;   Parent Loop BB0_36 Depth=1
                                        ; =>  This Loop Header: Depth=2
                                        ;       Child Loop BB0_425 Depth 3
	s_delay_alu instid0(VALU_DEP_1)
	v_dual_mov_b32 v3, v113 :: v_dual_bitop2_b32 v2, -4, v112 bitop3:0x40
	v_min_u32_e32 v4, 8, v57
	v_dual_mov_b32 v44, 0 :: v_dual_bitop2_b32 v5, 3, v112 bitop3:0x40
	v_mov_b32_e32 v45, 0
	global_load_b32 v40, v[2:3], off th:TH_LOAD_NT
	s_mov_b32 s7, exec_lo
	v_add_nc_u32_e32 v54, v5, v4
	s_wait_xcnt 0x0
	s_delay_alu instid0(VALU_DEP_1)
	v_cmpx_lt_u32_e32 4, v54
	s_cbranch_execz .LBB0_419
; %bb.418:                              ;   in Loop: Header=BB0_417 Depth=2
	global_load_b32 v45, v[2:3], off offset:4 th:TH_LOAD_NT
.LBB0_419:                              ;   in Loop: Header=BB0_417 Depth=2
	s_wait_xcnt 0x0
	s_or_b32 exec_lo, exec_lo, s7
	s_delay_alu instid0(SALU_CYCLE_1)
	s_mov_b32 s7, exec_lo
	v_cmpx_lt_u64_e32 8, v[54:55]
	s_cbranch_execz .LBB0_421
; %bb.420:                              ;   in Loop: Header=BB0_417 Depth=2
	global_load_b32 v44, v[2:3], off offset:8 th:TH_LOAD_NT
.LBB0_421:                              ;   in Loop: Header=BB0_417 Depth=2
	s_wait_xcnt 0x0
	s_or_b32 exec_lo, exec_lo, s7
	v_ashrrev_i32_e32 v117, 31, v116
	s_mov_b32 s17, exec_lo
	s_delay_alu instid0(VALU_DEP_1)
	v_lshl_add_u64 v[118:119], v[116:117], 4, v[114:115]
	global_load_b128 v[2:5], v[118:119], off th:TH_LOAD_NT
	s_wait_xcnt 0x0
	v_cmpx_eq_u32_e32 0, v21
	s_cbranch_execz .LBB0_433
; %bb.422:                              ;   in Loop: Header=BB0_417 Depth=2
	s_wait_loadcnt 0x0
	v_cmp_ne_u32_e32 vcc_lo, v42, v3
	v_cmp_ne_u32_e64 s7, v42, v5
	v_mov_b32_e32 v21, 0
	s_or_b32 s7, vcc_lo, s7
	s_delay_alu instid0(SALU_CYCLE_1)
	s_and_saveexec_b32 s18, s7
	s_cbranch_execz .LBB0_432
; %bb.423:                              ;   in Loop: Header=BB0_417 Depth=2
	s_mov_b32 s22, 1
	s_mov_b32 s20, 0
                                        ; implicit-def: $sgpr19
                                        ; implicit-def: $sgpr21
	s_branch .LBB0_425
.LBB0_424:                              ;   in Loop: Header=BB0_425 Depth=3
	s_or_b32 exec_lo, exec_lo, s24
	s_delay_alu instid0(SALU_CYCLE_1) | instskip(NEXT) | instid1(SALU_CYCLE_1)
	s_and_b32 s7, exec_lo, s7
	s_or_b32 s20, s7, s20
	s_and_not1_b32 s7, s19, exec_lo
	s_and_b32 s19, s21, exec_lo
	s_delay_alu instid0(SALU_CYCLE_1)
	s_or_b32 s19, s7, s19
	s_and_not1_b32 exec_lo, exec_lo, s20
	s_cbranch_execz .LBB0_429
.LBB0_425:                              ;   Parent Loop BB0_36 Depth=1
                                        ;     Parent Loop BB0_417 Depth=2
                                        ; =>    This Inner Loop Header: Depth=3
	s_wait_loadcnt 0x0
	global_load_b128 v[2:5], v[118:119], off th:TH_LOAD_NT
	s_add_co_i32 s22, s22, 1
	s_mov_b32 s7, -1
	s_cmp_lg_u32 s22, 0x2710
	s_mov_b32 s23, -1
                                        ; implicit-def: $vgpr54
	s_cbranch_scc0 .LBB0_427
; %bb.426:                              ;   in Loop: Header=BB0_425 Depth=3
	s_or_b32 s21, s21, exec_lo
	s_wait_xcnt 0x0
	s_and_saveexec_b32 s24, s23
	s_cbranch_execz .LBB0_424
	s_branch .LBB0_428
.LBB0_427:                              ;   in Loop: Header=BB0_425 Depth=3
	s_trap 2
	ds_load_b64 v[46:47], v0
	s_mov_b32 s22, 0
	s_wait_storecnt 0x0
	s_wait_loadcnt_dscnt 0x0
	flat_load_b32 v54, v[46:47] scope:SCOPE_SYS
	s_wait_loadcnt_dscnt 0x0
	global_inv scope:SCOPE_SYS
	v_cmp_eq_u32_e32 vcc_lo, 0, v54
	s_or_not1_b32 s23, vcc_lo, exec_lo
	s_or_b32 s21, s21, exec_lo
	s_wait_xcnt 0x0
	s_and_saveexec_b32 s24, s23
	s_cbranch_execz .LBB0_424
.LBB0_428:                              ;   in Loop: Header=BB0_425 Depth=3
	s_wait_loadcnt 0x0
	v_cmp_eq_u32_e32 vcc_lo, v42, v3
	v_cmp_eq_u32_e64 s7, v42, v5
	s_and_not1_b32 s21, s21, exec_lo
	s_and_b32 s7, vcc_lo, s7
	s_delay_alu instid0(SALU_CYCLE_1)
	s_or_not1_b32 s7, s7, exec_lo
	s_branch .LBB0_424
.LBB0_429:                              ;   in Loop: Header=BB0_417 Depth=2
	s_or_b32 exec_lo, exec_lo, s20
	v_mov_b32_e32 v21, 0
	s_and_saveexec_b32 s7, s19
	s_delay_alu instid0(SALU_CYCLE_1)
	s_xor_b32 s7, exec_lo, s7
	s_cbranch_execz .LBB0_431
; %bb.430:                              ;   in Loop: Header=BB0_417 Depth=2
	v_mov_b32_e32 v21, 1
	s_wait_loadcnt 0x0
	s_wait_storecnt 0x0
	ds_store_b32 v0, v54
	s_trap 2
.LBB0_431:                              ;   in Loop: Header=BB0_417 Depth=2
	s_or_b32 exec_lo, exec_lo, s7
.LBB0_432:                              ;   in Loop: Header=BB0_417 Depth=2
	s_delay_alu instid0(SALU_CYCLE_1)
	s_or_b32 exec_lo, exec_lo, s18
.LBB0_433:                              ;   in Loop: Header=BB0_417 Depth=2
	s_delay_alu instid0(SALU_CYCLE_1) | instskip(SKIP_4) | instid1(VALU_DEP_2)
	s_or_b32 exec_lo, exec_lo, s17
	s_wait_loadcnt 0x0
	v_and_b32_e32 v54, 0xff, v2
	v_dual_mov_b32 v117, 0 :: v_dual_mov_b32 v118, 0
	s_mov_b32 s7, exec_lo
	v_cmpx_ne_u16_e32 0, v54
	s_cbranch_execz .LBB0_439
; %bb.434:                              ;   in Loop: Header=BB0_417 Depth=2
	v_bfrev_b32_e32 v118, 1
	s_mov_b32 s17, exec_lo
	v_cmpx_ne_u16_e32 0x80, v54
	s_cbranch_execz .LBB0_438
; %bb.435:                              ;   in Loop: Header=BB0_417 Depth=2
	v_and_b32_e32 v54, 0x7f, v2
	v_mov_b32_e32 v118, 0x7f800001
	s_mov_b32 s18, exec_lo
	s_delay_alu instid0(VALU_DEP_2)
	v_cmpx_ne_u32_e32 0x7f, v54
	s_cbranch_execz .LBB0_437
; %bb.436:                              ;   in Loop: Header=BB0_417 Depth=2
	v_and_b32_e32 v118, 7, v2
	v_cmp_gt_u32_e32 vcc_lo, 8, v54
	s_delay_alu instid0(VALU_DEP_2) | instskip(NEXT) | instid1(VALU_DEP_1)
	v_clz_i32_u32_e32 v118, v118
	v_min_u32_e32 v118, 32, v118
	s_delay_alu instid0(VALU_DEP_1) | instskip(SKIP_2) | instid1(VALU_DEP_1)
	v_subrev_nc_u32_e32 v41, 28, v118
	v_lshrrev_b32_e32 v119, 3, v54
	v_sub_nc_u32_e32 v118, 29, v118
	v_dual_cndmask_b32 v54, v119, v118, vcc_lo :: v_dual_cndmask_b32 v118, 0, v41, vcc_lo
	s_delay_alu instid0(VALU_DEP_1) | instskip(SKIP_1) | instid1(VALU_DEP_1)
	v_lshlrev_b64_e32 v[118:119], v118, v[2:3]
	v_lshlrev_b32_e32 v3, 24, v2
	v_and_b32_e32 v3, 0x80000000, v3
	s_delay_alu instid0(VALU_DEP_3) | instskip(SKIP_1) | instid1(VALU_DEP_2)
	v_lshlrev_b32_e32 v118, 20, v118
	v_lshl_add_u32 v54, v54, 23, 0x3c000000
	v_and_b32_e32 v118, 0x700000, v118
	s_delay_alu instid0(VALU_DEP_1)
	v_or3_b32 v118, v118, v3, v54
.LBB0_437:                              ;   in Loop: Header=BB0_417 Depth=2
	s_or_b32 exec_lo, exec_lo, s18
.LBB0_438:                              ;   in Loop: Header=BB0_417 Depth=2
	s_delay_alu instid0(SALU_CYCLE_1)
	s_or_b32 exec_lo, exec_lo, s17
.LBB0_439:                              ;   in Loop: Header=BB0_417 Depth=2
	s_delay_alu instid0(SALU_CYCLE_1) | instskip(SKIP_2) | instid1(VALU_DEP_1)
	s_or_b32 exec_lo, exec_lo, s7
	v_lshlrev_b32_e32 v46, 3, v112
	s_mov_b32 s7, exec_lo
	v_alignbit_b32 v54, v45, v40, v46
	s_delay_alu instid0(VALU_DEP_1) | instskip(NEXT) | instid1(VALU_DEP_1)
	v_and_b32_e32 v3, 0xff, v54
	v_cmpx_ne_u16_e32 0, v3
	s_cbranch_execz .LBB0_445
; %bb.440:                              ;   in Loop: Header=BB0_417 Depth=2
	v_bfrev_b32_e32 v117, 1
	s_mov_b32 s17, exec_lo
	v_cmpx_ne_u16_e32 0x80, v3
	s_cbranch_execz .LBB0_444
; %bb.441:                              ;   in Loop: Header=BB0_417 Depth=2
	v_and_b32_e32 v3, 0x7f, v54
	v_mov_b32_e32 v117, 0x7f800001
	s_mov_b32 s18, exec_lo
	s_delay_alu instid0(VALU_DEP_2)
	v_cmpx_ne_u32_e32 0x7f, v3
	s_cbranch_execz .LBB0_443
; %bb.442:                              ;   in Loop: Header=BB0_417 Depth=2
	v_dual_lshrrev_b32 v119, 3, v3 :: v_dual_bitop2_b32 v117, 7, v54 bitop3:0x40
	v_cmp_gt_u32_e32 vcc_lo, 8, v3
	s_delay_alu instid0(VALU_DEP_2) | instskip(NEXT) | instid1(VALU_DEP_1)
	v_clz_i32_u32_e32 v117, v117
	v_min_u32_e32 v117, 32, v117
	s_delay_alu instid0(VALU_DEP_1) | instskip(SKIP_1) | instid1(VALU_DEP_1)
	v_subrev_nc_u32_e32 v40, 28, v117
	v_sub_nc_u32_e32 v117, 29, v117
	v_dual_cndmask_b32 v3, v119, v117, vcc_lo :: v_dual_cndmask_b32 v117, 0, v40, vcc_lo
	s_delay_alu instid0(VALU_DEP_1) | instskip(NEXT) | instid1(VALU_DEP_2)
	v_lshl_add_u32 v3, v3, 23, 0x3c000000
	v_lshlrev_b64_e32 v[40:41], v117, v[54:55]
	v_lshlrev_b32_e32 v117, 24, v54
	s_delay_alu instid0(VALU_DEP_1) | instskip(NEXT) | instid1(VALU_DEP_3)
	v_and_b32_e32 v117, 0x80000000, v117
	v_lshlrev_b32_e32 v119, 20, v40
	s_delay_alu instid0(VALU_DEP_1) | instskip(NEXT) | instid1(VALU_DEP_1)
	v_and_b32_e32 v119, 0x700000, v119
	v_or3_b32 v117, v119, v117, v3
.LBB0_443:                              ;   in Loop: Header=BB0_417 Depth=2
	s_or_b32 exec_lo, exec_lo, s18
.LBB0_444:                              ;   in Loop: Header=BB0_417 Depth=2
	s_delay_alu instid0(SALU_CYCLE_1)
	s_or_b32 exec_lo, exec_lo, s17
.LBB0_445:                              ;   in Loop: Header=BB0_417 Depth=2
	s_delay_alu instid0(SALU_CYCLE_1) | instskip(NEXT) | instid1(VALU_DEP_1)
	s_or_b32 exec_lo, exec_lo, s7
	v_dual_add_f32 v118, v118, v117 :: v_dual_mov_b32 v41, v55
                                        ; implicit-def: $vgpr117
	s_mov_b32 s7, exec_lo
	s_delay_alu instid0(VALU_DEP_1) | instskip(SKIP_1) | instid1(VALU_DEP_2)
	v_and_b32_e32 v40, 0x7f800000, v118
	v_lshrrev_b32_e32 v3, 24, v118
	v_cmpx_ne_u64_e32 0x7f800000, v[40:41]
	s_xor_b32 s17, exec_lo, s7
	s_cbranch_execz .LBB0_459
; %bb.446:                              ;   in Loop: Header=BB0_417 Depth=2
	v_and_b32_e32 v40, 0x7fffffff, v118
	v_mov_b32_e32 v41, v55
	v_and_b32_e32 v3, 0x80, v3
                                        ; implicit-def: $vgpr117
	s_mov_b32 s7, exec_lo
	s_delay_alu instid0(VALU_DEP_2)
	v_cmpx_gt_u64_e32 0x43e00001, v[40:41]
	s_xor_b32 s18, exec_lo, s7
	s_cbranch_execz .LBB0_456
; %bb.447:                              ;   in Loop: Header=BB0_417 Depth=2
	v_mov_b32_e32 v117, 0
	s_mov_b32 s19, exec_lo
	v_cmpx_ne_u32_e32 0, v118
	s_cbranch_execz .LBB0_455
; %bb.448:                              ;   in Loop: Header=BB0_417 Depth=2
	v_bfe_u32 v117, v118, 23, 8
	v_and_b32_e32 v40, 0x7fffff, v118
	s_mov_b32 s20, exec_lo
	s_delay_alu instid0(VALU_DEP_2) | instskip(NEXT) | instid1(VALU_DEP_2)
	v_cmp_gt_u32_e32 vcc_lo, 0x7a, v117
	v_or_b32_e32 v41, 0x800000, v40
	v_sub_nc_u32_e32 v119, 0x79, v117
	s_delay_alu instid0(VALU_DEP_1) | instskip(SKIP_1) | instid1(VALU_DEP_4)
	v_cndmask_b32_e32 v119, 0, v119, vcc_lo
	v_cmp_eq_u32_e32 vcc_lo, 0, v117
	v_dual_cndmask_b32 v40, v41, v40 :: v_dual_mov_b32 v41, v55
	s_delay_alu instid0(VALU_DEP_3) | instskip(NEXT) | instid1(VALU_DEP_1)
	v_cndmask_b32_e64 v43, v119, 0x78, vcc_lo
	v_dual_add_nc_u32 v118, 20, v43 :: v_dual_add_nc_u32 v47, 19, v43
	s_delay_alu instid0(VALU_DEP_1) | instskip(NEXT) | instid1(VALU_DEP_2)
	v_lshlrev_b64_e64 v[118:119], v118, -1
	v_lshlrev_b64_e64 v[58:59], v47, 1
	s_delay_alu instid0(VALU_DEP_2) | instskip(NEXT) | instid1(VALU_DEP_3)
	v_bfi_b32 v61, v119, 0, 0
	v_bfi_b32 v60, v118, 0, v40
	v_lshrrev_b64 v[118:119], v43, v[40:41]
	s_delay_alu instid0(VALU_DEP_1) | instskip(NEXT) | instid1(VALU_DEP_3)
	v_mov_b64_e32 v[40:41], v[118:119]
	v_cmpx_eq_u64_e64 v[60:61], v[58:59]
; %bb.449:                              ;   in Loop: Header=BB0_417 Depth=2
	v_bfe_u32 v40, v118, 20, 1
	v_mov_b32_e32 v41, v55
	s_delay_alu instid0(VALU_DEP_1) | instskip(NEXT) | instid1(VALU_DEP_1)
	v_add_nc_u64_e32 v[40:41], v[118:119], v[40:41]
	v_add_nc_u64_e32 v[40:41], -1, v[40:41]
; %bb.450:                              ;   in Loop: Header=BB0_417 Depth=2
	s_or_b32 exec_lo, exec_lo, s20
	v_add_nc_u32_e32 v117, 0xffffff81, v117
	v_lshrrev_b32_e32 v119, 23, v118
	s_mov_b32 s7, exec_lo
	s_delay_alu instid0(VALU_DEP_2) | instskip(NEXT) | instid1(VALU_DEP_1)
	v_cndmask_b32_e64 v117, v117, 0xffffff82, vcc_lo
	v_add3_u32 v41, v43, v117, v119
	v_and_b32_e32 v117, 0xfffff, v40
	s_delay_alu instid0(VALU_DEP_2) | instskip(NEXT) | instid1(VALU_DEP_2)
	v_dual_mov_b32 v119, v55 :: v_dual_add_nc_u32 v40, 6, v41
	v_add_nc_u32_e32 v118, v117, v118
                                        ; implicit-def: $vgpr117
	s_delay_alu instid0(VALU_DEP_2)
	v_cmpx_ne_u32_e32 0, v40
	s_xor_b32 s7, exec_lo, s7
; %bb.451:                              ;   in Loop: Header=BB0_417 Depth=2
	s_delay_alu instid0(VALU_DEP_2) | instskip(SKIP_1) | instid1(VALU_DEP_1)
	v_cmp_lt_u64_e32 vcc_lo, 0xffffff, v[118:119]
	v_add_nc_u32_e32 v117, 7, v41
	v_cndmask_b32_e32 v117, v40, v117, vcc_lo
	v_cndmask_b32_e64 v40, 0, 1, vcc_lo
	s_delay_alu instid0(VALU_DEP_1)
	v_lshrrev_b64 v[118:119], v40, v[118:119]
; %bb.452:                              ;   in Loop: Header=BB0_417 Depth=2
	s_and_not1_saveexec_b32 s7, s7
; %bb.453:                              ;   in Loop: Header=BB0_417 Depth=2
	s_delay_alu instid0(VALU_DEP_1)
	v_bfe_u32 v117, v118, 23, 1
; %bb.454:                              ;   in Loop: Header=BB0_417 Depth=2
	s_or_b32 exec_lo, exec_lo, s7
	s_delay_alu instid0(VALU_DEP_2) | instskip(NEXT) | instid1(VALU_DEP_2)
	v_lshrrev_b64 v[118:119], 20, v[118:119]
	v_cmp_gt_i32_e32 vcc_lo, 16, v117
	v_min_i32_e32 v40, 15, v117
	v_cmp_eq_u32_e64 s7, 0, v117
	s_delay_alu instid0(VALU_DEP_2) | instskip(SKIP_1) | instid1(VALU_DEP_2)
	v_dual_cndmask_b32 v119, 0, v119 :: v_dual_lshlrev_b32 v40, 3, v40
	v_cndmask_b32_e32 v118, 7, v118, vcc_lo
	v_and_b32_e32 v40, 0xf8, v40
	s_delay_alu instid0(VALU_DEP_2) | instskip(NEXT) | instid1(VALU_DEP_2)
	v_cmp_eq_u64_e32 vcc_lo, 0, v[118:119]
	v_and_or_b32 v117, v118, 7, v40
	s_and_b32 s7, s7, vcc_lo
	s_delay_alu instid0(VALU_DEP_1) | instid1(SALU_CYCLE_1)
	v_cndmask_b32_e64 v117, v117, 0, s7
	s_delay_alu instid0(VALU_DEP_1)
	v_or_b32_e32 v117, v117, v3
.LBB0_455:                              ;   in Loop: Header=BB0_417 Depth=2
	s_or_b32 exec_lo, exec_lo, s19
                                        ; implicit-def: $vgpr3
.LBB0_456:                              ;   in Loop: Header=BB0_417 Depth=2
	s_and_not1_saveexec_b32 s7, s18
; %bb.457:                              ;   in Loop: Header=BB0_417 Depth=2
	v_or_b32_e32 v117, 0x7e, v3
; %bb.458:                              ;   in Loop: Header=BB0_417 Depth=2
	s_or_b32 exec_lo, exec_lo, s7
                                        ; implicit-def: $vgpr3
.LBB0_459:                              ;   in Loop: Header=BB0_417 Depth=2
	s_and_not1_saveexec_b32 s7, s17
; %bb.460:                              ;   in Loop: Header=BB0_417 Depth=2
	v_or_b32_e32 v117, 0x7f, v3
; %bb.461:                              ;   in Loop: Header=BB0_417 Depth=2
	s_or_b32 exec_lo, exec_lo, s7
	v_lshrrev_b16 v118, 8, v2
	v_dual_mov_b32 v3, 0 :: v_dual_mov_b32 v40, 0
	s_mov_b32 s7, exec_lo
	s_delay_alu instid0(VALU_DEP_2)
	v_cmpx_ne_u16_e32 0, v118
	s_cbranch_execz .LBB0_469
; %bb.462:                              ;   in Loop: Header=BB0_417 Depth=2
	v_bfrev_b32_e32 v40, 1
	s_mov_b32 s17, exec_lo
	v_cmpx_ne_u16_e32 0x80, v118
	s_cbranch_execz .LBB0_468
; %bb.463:                              ;   in Loop: Header=BB0_417 Depth=2
	v_and_b32_e32 v118, 0xffff, v118
	v_mov_b32_e32 v40, 0x7f800001
	s_mov_b32 s18, exec_lo
	s_delay_alu instid0(VALU_DEP_2) | instskip(NEXT) | instid1(VALU_DEP_1)
	v_and_b32_e32 v41, 0x7f, v118
	v_cmpx_ne_u32_e32 0x7f, v41
	s_cbranch_execz .LBB0_467
; %bb.464:                              ;   in Loop: Header=BB0_417 Depth=2
	v_dual_mov_b32 v119, v55 :: v_dual_bitop2_b32 v118, 7, v118 bitop3:0x40
	v_lshrrev_b32_e32 v40, 3, v41
	s_mov_b32 s19, exec_lo
	v_cmpx_gt_u32_e32 8, v41
; %bb.465:                              ;   in Loop: Header=BB0_417 Depth=2
	s_delay_alu instid0(VALU_DEP_3) | instskip(NEXT) | instid1(VALU_DEP_1)
	v_clz_i32_u32_e32 v40, v118
	v_min_u32_e32 v40, 32, v40
	s_delay_alu instid0(VALU_DEP_1) | instskip(NEXT) | instid1(VALU_DEP_1)
	v_subrev_nc_u32_e32 v41, 28, v40
	v_lshlrev_b64_e32 v[118:119], v41, v[118:119]
	s_delay_alu instid0(VALU_DEP_1)
	v_dual_sub_nc_u32 v40, 29, v40 :: v_dual_bitop2_b32 v118, 7, v118 bitop3:0x40
; %bb.466:                              ;   in Loop: Header=BB0_417 Depth=2
	s_or_b32 exec_lo, exec_lo, s19
	v_lshlrev_b32_e32 v119, 16, v2
	s_delay_alu instid0(VALU_DEP_2) | instskip(NEXT) | instid1(VALU_DEP_3)
	v_lshlrev_b32_e32 v118, 20, v118
	v_lshl_add_u32 v40, v40, 23, 0x3c000000
	s_delay_alu instid0(VALU_DEP_3) | instskip(NEXT) | instid1(VALU_DEP_1)
	v_and_b32_e32 v119, 0x80000000, v119
	v_or3_b32 v40, v118, v119, v40
.LBB0_467:                              ;   in Loop: Header=BB0_417 Depth=2
	s_or_b32 exec_lo, exec_lo, s18
.LBB0_468:                              ;   in Loop: Header=BB0_417 Depth=2
	s_delay_alu instid0(SALU_CYCLE_1)
	s_or_b32 exec_lo, exec_lo, s17
.LBB0_469:                              ;   in Loop: Header=BB0_417 Depth=2
	s_delay_alu instid0(SALU_CYCLE_1) | instskip(SKIP_2) | instid1(VALU_DEP_1)
	s_or_b32 exec_lo, exec_lo, s7
	v_lshrrev_b16 v118, 8, v54
	s_mov_b32 s7, exec_lo
	v_cmpx_ne_u16_e32 0, v118
	s_cbranch_execz .LBB0_477
; %bb.470:                              ;   in Loop: Header=BB0_417 Depth=2
	v_bfrev_b32_e32 v3, 1
	s_mov_b32 s17, exec_lo
	v_cmpx_ne_u16_e32 0x80, v118
	s_cbranch_execz .LBB0_476
; %bb.471:                              ;   in Loop: Header=BB0_417 Depth=2
	v_and_b32_e32 v118, 0xffff, v118
	v_mov_b32_e32 v3, 0x7f800001
	s_mov_b32 s18, exec_lo
	s_delay_alu instid0(VALU_DEP_2) | instskip(NEXT) | instid1(VALU_DEP_1)
	v_and_b32_e32 v41, 0x7f, v118
	v_cmpx_ne_u32_e32 0x7f, v41
	s_cbranch_execz .LBB0_475
; %bb.472:                              ;   in Loop: Header=BB0_417 Depth=2
	v_dual_mov_b32 v119, v55 :: v_dual_bitop2_b32 v118, 7, v118 bitop3:0x40
	v_lshrrev_b32_e32 v3, 3, v41
	s_mov_b32 s19, exec_lo
	v_cmpx_gt_u32_e32 8, v41
; %bb.473:                              ;   in Loop: Header=BB0_417 Depth=2
	s_delay_alu instid0(VALU_DEP_3) | instskip(NEXT) | instid1(VALU_DEP_1)
	v_clz_i32_u32_e32 v3, v118
	v_min_u32_e32 v3, 32, v3
	s_delay_alu instid0(VALU_DEP_1) | instskip(NEXT) | instid1(VALU_DEP_1)
	v_subrev_nc_u32_e32 v41, 28, v3
	v_lshlrev_b64_e32 v[118:119], v41, v[118:119]
	s_delay_alu instid0(VALU_DEP_1)
	v_dual_sub_nc_u32 v3, 29, v3 :: v_dual_bitop2_b32 v118, 7, v118 bitop3:0x40
; %bb.474:                              ;   in Loop: Header=BB0_417 Depth=2
	s_or_b32 exec_lo, exec_lo, s19
	v_lshlrev_b32_e32 v119, 16, v54
	s_delay_alu instid0(VALU_DEP_2) | instskip(NEXT) | instid1(VALU_DEP_3)
	v_lshlrev_b32_e32 v118, 20, v118
	v_lshl_add_u32 v3, v3, 23, 0x3c000000
	s_delay_alu instid0(VALU_DEP_3) | instskip(NEXT) | instid1(VALU_DEP_1)
	v_and_b32_e32 v119, 0x80000000, v119
	v_or3_b32 v3, v118, v119, v3
.LBB0_475:                              ;   in Loop: Header=BB0_417 Depth=2
	s_or_b32 exec_lo, exec_lo, s18
.LBB0_476:                              ;   in Loop: Header=BB0_417 Depth=2
	s_delay_alu instid0(SALU_CYCLE_1)
	s_or_b32 exec_lo, exec_lo, s17
.LBB0_477:                              ;   in Loop: Header=BB0_417 Depth=2
	s_delay_alu instid0(SALU_CYCLE_1) | instskip(NEXT) | instid1(VALU_DEP_1)
	s_or_b32 exec_lo, exec_lo, s7
	v_dual_add_f32 v118, v40, v3 :: v_dual_mov_b32 v41, v55
                                        ; implicit-def: $vgpr43
	s_mov_b32 s7, exec_lo
	s_delay_alu instid0(VALU_DEP_1) | instskip(SKIP_1) | instid1(VALU_DEP_2)
	v_and_b32_e32 v40, 0x7f800000, v118
	v_lshrrev_b32_e32 v3, 24, v118
	v_cmpx_ne_u64_e32 0x7f800000, v[40:41]
	s_xor_b32 s17, exec_lo, s7
	s_cbranch_execz .LBB0_491
; %bb.478:                              ;   in Loop: Header=BB0_417 Depth=2
	v_and_b32_e32 v40, 0x7fffffff, v118
	v_mov_b32_e32 v41, v55
	v_and_b32_e32 v3, 0x80, v3
                                        ; implicit-def: $vgpr43
	s_mov_b32 s7, exec_lo
	s_delay_alu instid0(VALU_DEP_2)
	v_cmpx_gt_u64_e32 0x43e00001, v[40:41]
	s_xor_b32 s18, exec_lo, s7
	s_cbranch_execz .LBB0_488
; %bb.479:                              ;   in Loop: Header=BB0_417 Depth=2
	v_mov_b32_e32 v43, 0
	s_mov_b32 s19, exec_lo
	v_cmpx_ne_u32_e32 0, v118
	s_cbranch_execz .LBB0_487
; %bb.480:                              ;   in Loop: Header=BB0_417 Depth=2
	v_bfe_u32 v43, v118, 23, 8
	v_and_b32_e32 v40, 0x7fffff, v118
	s_mov_b32 s20, exec_lo
	s_delay_alu instid0(VALU_DEP_2) | instskip(NEXT) | instid1(VALU_DEP_2)
	v_cmp_gt_u32_e32 vcc_lo, 0x7a, v43
	v_or_b32_e32 v41, 0x800000, v40
	v_sub_nc_u32_e32 v119, 0x79, v43
	s_delay_alu instid0(VALU_DEP_1) | instskip(SKIP_1) | instid1(VALU_DEP_4)
	v_cndmask_b32_e32 v119, 0, v119, vcc_lo
	v_cmp_eq_u32_e32 vcc_lo, 0, v43
	v_dual_cndmask_b32 v40, v41, v40 :: v_dual_mov_b32 v41, v55
	s_delay_alu instid0(VALU_DEP_3) | instskip(NEXT) | instid1(VALU_DEP_1)
	v_cndmask_b32_e64 v47, v119, 0x78, vcc_lo
	v_dual_add_nc_u32 v118, 20, v47 :: v_dual_add_nc_u32 v58, 19, v47
	s_delay_alu instid0(VALU_DEP_1) | instskip(NEXT) | instid1(VALU_DEP_2)
	v_lshlrev_b64_e64 v[118:119], v118, -1
	v_lshlrev_b64_e64 v[58:59], v58, 1
	s_delay_alu instid0(VALU_DEP_2) | instskip(NEXT) | instid1(VALU_DEP_3)
	v_bfi_b32 v61, v119, 0, 0
	v_bfi_b32 v60, v118, 0, v40
	v_lshrrev_b64 v[118:119], v47, v[40:41]
	s_delay_alu instid0(VALU_DEP_1) | instskip(NEXT) | instid1(VALU_DEP_3)
	v_mov_b64_e32 v[40:41], v[118:119]
	v_cmpx_eq_u64_e64 v[60:61], v[58:59]
; %bb.481:                              ;   in Loop: Header=BB0_417 Depth=2
	v_bfe_u32 v40, v118, 20, 1
	v_mov_b32_e32 v41, v55
	s_delay_alu instid0(VALU_DEP_1) | instskip(NEXT) | instid1(VALU_DEP_1)
	v_add_nc_u64_e32 v[40:41], v[118:119], v[40:41]
	v_add_nc_u64_e32 v[40:41], -1, v[40:41]
; %bb.482:                              ;   in Loop: Header=BB0_417 Depth=2
	s_or_b32 exec_lo, exec_lo, s20
	v_add_nc_u32_e32 v119, 0xffffff81, v43
	v_lshrrev_b32_e32 v41, 23, v118
	s_mov_b32 s7, exec_lo
	s_delay_alu instid0(VALU_DEP_2) | instskip(NEXT) | instid1(VALU_DEP_1)
	v_cndmask_b32_e64 v119, v119, 0xffffff82, vcc_lo
	v_add3_u32 v41, v47, v119, v41
	v_and_b32_e32 v119, 0xfffff, v40
                                        ; implicit-def: $vgpr40
	s_delay_alu instid0(VALU_DEP_1) | instskip(SKIP_1) | instid1(VALU_DEP_2)
	v_dual_add_nc_u32 v43, 6, v41 :: v_dual_add_nc_u32 v118, v119, v118
	v_mov_b32_e32 v119, v55
	v_cmpx_ne_u32_e32 0, v43
	s_xor_b32 s7, exec_lo, s7
; %bb.483:                              ;   in Loop: Header=BB0_417 Depth=2
	s_delay_alu instid0(VALU_DEP_2) | instskip(SKIP_2) | instid1(VALU_DEP_2)
	v_cmp_lt_u64_e32 vcc_lo, 0xffffff, v[118:119]
	v_add_nc_u32_e32 v40, 7, v41
	v_cndmask_b32_e64 v41, 0, 1, vcc_lo
	v_cndmask_b32_e32 v40, v43, v40, vcc_lo
	s_delay_alu instid0(VALU_DEP_2)
	v_lshrrev_b64 v[118:119], v41, v[118:119]
; %bb.484:                              ;   in Loop: Header=BB0_417 Depth=2
	s_and_not1_saveexec_b32 s7, s7
; %bb.485:                              ;   in Loop: Header=BB0_417 Depth=2
	s_delay_alu instid0(VALU_DEP_1)
	v_bfe_u32 v40, v118, 23, 1
; %bb.486:                              ;   in Loop: Header=BB0_417 Depth=2
	s_or_b32 exec_lo, exec_lo, s7
	s_delay_alu instid0(VALU_DEP_2) | instskip(NEXT) | instid1(VALU_DEP_2)
	v_lshrrev_b64 v[118:119], 20, v[118:119]
	v_cmp_gt_i32_e32 vcc_lo, 16, v40
	v_min_i32_e32 v41, 15, v40
	v_cmp_eq_u32_e64 s7, 0, v40
	s_delay_alu instid0(VALU_DEP_2) | instskip(SKIP_1) | instid1(VALU_DEP_2)
	v_dual_cndmask_b32 v119, 0, v119, vcc_lo :: v_dual_lshlrev_b32 v41, 3, v41
	v_cndmask_b32_e32 v118, 7, v118, vcc_lo
	v_and_b32_e32 v41, 0xf8, v41
	s_delay_alu instid0(VALU_DEP_2) | instskip(NEXT) | instid1(VALU_DEP_2)
	v_cmp_eq_u64_e32 vcc_lo, 0, v[118:119]
	v_and_or_b32 v118, v118, 7, v41
	s_and_b32 s7, s7, vcc_lo
	s_delay_alu instid0(VALU_DEP_1) | instid1(SALU_CYCLE_1)
	v_cndmask_b32_e64 v118, v118, 0, s7
	s_delay_alu instid0(VALU_DEP_1)
	v_or_b32_e32 v43, v118, v3
.LBB0_487:                              ;   in Loop: Header=BB0_417 Depth=2
	s_or_b32 exec_lo, exec_lo, s19
                                        ; implicit-def: $vgpr3
.LBB0_488:                              ;   in Loop: Header=BB0_417 Depth=2
	s_and_not1_saveexec_b32 s7, s18
; %bb.489:                              ;   in Loop: Header=BB0_417 Depth=2
	v_or_b32_e32 v43, 0x7e, v3
; %bb.490:                              ;   in Loop: Header=BB0_417 Depth=2
	s_or_b32 exec_lo, exec_lo, s7
                                        ; implicit-def: $vgpr3
.LBB0_491:                              ;   in Loop: Header=BB0_417 Depth=2
	s_and_not1_saveexec_b32 s7, s17
; %bb.492:                              ;   in Loop: Header=BB0_417 Depth=2
	v_or_b32_e32 v43, 0x7f, v3
; %bb.493:                              ;   in Loop: Header=BB0_417 Depth=2
	s_or_b32 exec_lo, exec_lo, s7
	v_dual_lshrrev_b32 v41, 16, v2 :: v_dual_mov_b32 v3, 0
	v_mov_b32_e32 v40, 0
	s_mov_b32 s7, exec_lo
	s_delay_alu instid0(VALU_DEP_2) | instskip(NEXT) | instid1(VALU_DEP_1)
	v_and_b32_e32 v118, 0xff, v41
	v_cmpx_ne_u16_e32 0, v118
	s_cbranch_execz .LBB0_501
; %bb.494:                              ;   in Loop: Header=BB0_417 Depth=2
	v_bfrev_b32_e32 v40, 1
	s_mov_b32 s17, exec_lo
	v_cmpx_ne_u16_e32 0x80, v118
	s_cbranch_execz .LBB0_500
; %bb.495:                              ;   in Loop: Header=BB0_417 Depth=2
	v_bfe_u32 v47, v2, 16, 7
	v_mov_b32_e32 v40, 0x7f800001
	s_mov_b32 s18, exec_lo
	s_delay_alu instid0(VALU_DEP_2)
	v_cmpx_ne_u32_e32 0x7f, v47
	s_cbranch_execz .LBB0_499
; %bb.496:                              ;   in Loop: Header=BB0_417 Depth=2
	v_dual_mov_b32 v119, v55 :: v_dual_bitop2_b32 v118, 7, v41 bitop3:0x40
	v_lshrrev_b32_e32 v40, 3, v47
	s_mov_b32 s19, exec_lo
	v_cmpx_gt_u32_e32 8, v47
; %bb.497:                              ;   in Loop: Header=BB0_417 Depth=2
	s_delay_alu instid0(VALU_DEP_3) | instskip(NEXT) | instid1(VALU_DEP_1)
	v_clz_i32_u32_e32 v40, v118
	v_min_u32_e32 v40, 32, v40
	s_delay_alu instid0(VALU_DEP_1) | instskip(NEXT) | instid1(VALU_DEP_1)
	v_subrev_nc_u32_e32 v47, 28, v40
	v_lshlrev_b64_e32 v[118:119], v47, v[118:119]
	s_delay_alu instid0(VALU_DEP_1)
	v_dual_sub_nc_u32 v40, 29, v40 :: v_dual_bitop2_b32 v118, 7, v118 bitop3:0x40
; %bb.498:                              ;   in Loop: Header=BB0_417 Depth=2
	s_or_b32 exec_lo, exec_lo, s19
	s_delay_alu instid0(VALU_DEP_1) | instskip(NEXT) | instid1(VALU_DEP_2)
	v_dual_lshlrev_b32 v119, 24, v41 :: v_dual_lshlrev_b32 v118, 20, v118
	v_lshl_add_u32 v40, v40, 23, 0x3c000000
	s_delay_alu instid0(VALU_DEP_2) | instskip(NEXT) | instid1(VALU_DEP_1)
	v_and_b32_e32 v119, 0x80000000, v119
	v_or3_b32 v40, v118, v119, v40
.LBB0_499:                              ;   in Loop: Header=BB0_417 Depth=2
	s_or_b32 exec_lo, exec_lo, s18
.LBB0_500:                              ;   in Loop: Header=BB0_417 Depth=2
	s_delay_alu instid0(SALU_CYCLE_1)
	s_or_b32 exec_lo, exec_lo, s17
.LBB0_501:                              ;   in Loop: Header=BB0_417 Depth=2
	s_delay_alu instid0(SALU_CYCLE_1) | instskip(SKIP_2) | instid1(VALU_DEP_1)
	s_or_b32 exec_lo, exec_lo, s7
	v_lshrrev_b32_e32 v118, 16, v54
	s_mov_b32 s7, exec_lo
	v_and_b32_e32 v119, 0xff, v118
	s_delay_alu instid0(VALU_DEP_1)
	v_cmpx_ne_u16_e32 0, v119
	s_cbranch_execz .LBB0_509
; %bb.502:                              ;   in Loop: Header=BB0_417 Depth=2
	v_bfrev_b32_e32 v3, 1
	s_mov_b32 s17, exec_lo
	v_cmpx_ne_u16_e32 0x80, v119
	s_cbranch_execz .LBB0_508
; %bb.503:                              ;   in Loop: Header=BB0_417 Depth=2
	v_bfe_u32 v41, v54, 16, 7
	v_mov_b32_e32 v3, 0x7f800001
	s_mov_b32 s18, exec_lo
	s_delay_alu instid0(VALU_DEP_2)
	v_cmpx_ne_u32_e32 0x7f, v41
	s_cbranch_execz .LBB0_507
; %bb.504:                              ;   in Loop: Header=BB0_417 Depth=2
	v_dual_mov_b32 v119, v55 :: v_dual_bitop2_b32 v118, 7, v118 bitop3:0x40
	v_lshrrev_b32_e32 v3, 3, v41
	s_mov_b32 s19, exec_lo
	v_cmpx_gt_u32_e32 8, v41
; %bb.505:                              ;   in Loop: Header=BB0_417 Depth=2
	s_delay_alu instid0(VALU_DEP_3) | instskip(NEXT) | instid1(VALU_DEP_1)
	v_clz_i32_u32_e32 v3, v118
	v_min_u32_e32 v3, 32, v3
	s_delay_alu instid0(VALU_DEP_1) | instskip(NEXT) | instid1(VALU_DEP_1)
	v_subrev_nc_u32_e32 v41, 28, v3
	v_lshlrev_b64_e32 v[118:119], v41, v[118:119]
	s_delay_alu instid0(VALU_DEP_1)
	v_dual_sub_nc_u32 v3, 29, v3 :: v_dual_bitop2_b32 v118, 7, v118 bitop3:0x40
; %bb.506:                              ;   in Loop: Header=BB0_417 Depth=2
	s_or_b32 exec_lo, exec_lo, s19
	v_lshlrev_b32_e32 v119, 8, v54
	s_delay_alu instid0(VALU_DEP_2) | instskip(NEXT) | instid1(VALU_DEP_3)
	v_lshlrev_b32_e32 v118, 20, v118
	v_lshl_add_u32 v3, v3, 23, 0x3c000000
	s_delay_alu instid0(VALU_DEP_3) | instskip(NEXT) | instid1(VALU_DEP_1)
	v_and_b32_e32 v119, 0x80000000, v119
	v_or3_b32 v3, v118, v119, v3
.LBB0_507:                              ;   in Loop: Header=BB0_417 Depth=2
	s_or_b32 exec_lo, exec_lo, s18
.LBB0_508:                              ;   in Loop: Header=BB0_417 Depth=2
	s_delay_alu instid0(SALU_CYCLE_1)
	s_or_b32 exec_lo, exec_lo, s17
.LBB0_509:                              ;   in Loop: Header=BB0_417 Depth=2
	s_delay_alu instid0(SALU_CYCLE_1) | instskip(NEXT) | instid1(VALU_DEP_1)
	s_or_b32 exec_lo, exec_lo, s7
	v_dual_add_f32 v118, v40, v3 :: v_dual_mov_b32 v41, v55
	s_delay_alu instid0(VALU_DEP_1) | instskip(SKIP_1) | instid1(VALU_DEP_2)
	v_and_b32_e32 v40, 0x7f800000, v118
	v_lshrrev_b32_e32 v3, 24, v118
	v_cmp_ne_u64_e32 vcc_lo, 0x7f800000, v[40:41]
                                        ; implicit-def: $vgpr40
	s_and_saveexec_b32 s7, vcc_lo
	s_delay_alu instid0(SALU_CYCLE_1)
	s_xor_b32 s17, exec_lo, s7
	s_cbranch_execz .LBB0_523
; %bb.510:                              ;   in Loop: Header=BB0_417 Depth=2
	v_and_b32_e32 v40, 0x7fffffff, v118
	v_mov_b32_e32 v41, v55
	v_and_b32_e32 v3, 0x80, v3
	s_delay_alu instid0(VALU_DEP_2) | instskip(SKIP_1) | instid1(SALU_CYCLE_1)
	v_cmp_gt_u64_e32 vcc_lo, 0x43e00001, v[40:41]
                                        ; implicit-def: $vgpr40
	s_and_saveexec_b32 s7, vcc_lo
	s_xor_b32 s18, exec_lo, s7
	s_cbranch_execz .LBB0_520
; %bb.511:                              ;   in Loop: Header=BB0_417 Depth=2
	v_mov_b32_e32 v40, 0
	s_mov_b32 s19, exec_lo
	v_cmpx_ne_u32_e32 0, v118
	s_cbranch_execz .LBB0_519
; %bb.512:                              ;   in Loop: Header=BB0_417 Depth=2
	v_bfe_u32 v47, v118, 23, 8
	v_and_b32_e32 v40, 0x7fffff, v118
	s_mov_b32 s20, exec_lo
	s_delay_alu instid0(VALU_DEP_2) | instskip(NEXT) | instid1(VALU_DEP_2)
	v_cmp_gt_u32_e32 vcc_lo, 0x7a, v47
	v_or_b32_e32 v41, 0x800000, v40
	v_sub_nc_u32_e32 v119, 0x79, v47
	s_delay_alu instid0(VALU_DEP_1) | instskip(SKIP_1) | instid1(VALU_DEP_2)
	v_cndmask_b32_e32 v119, 0, v119, vcc_lo
	v_cmp_eq_u32_e32 vcc_lo, 0, v47
	v_cndmask_b32_e64 v58, v119, 0x78, vcc_lo
	v_dual_cndmask_b32 v40, v41, v40 :: v_dual_mov_b32 v41, v55
	s_delay_alu instid0(VALU_DEP_2) | instskip(NEXT) | instid1(VALU_DEP_1)
	v_dual_add_nc_u32 v59, 19, v58 :: v_dual_add_nc_u32 v118, 20, v58
	v_lshlrev_b64_e64 v[60:61], v59, 1
	s_delay_alu instid0(VALU_DEP_2) | instskip(NEXT) | instid1(VALU_DEP_1)
	v_lshlrev_b64_e64 v[118:119], v118, -1
	v_bfi_b32 v63, v119, 0, 0
	s_delay_alu instid0(VALU_DEP_2) | instskip(SKIP_1) | instid1(VALU_DEP_1)
	v_bfi_b32 v62, v118, 0, v40
	v_lshrrev_b64 v[118:119], v58, v[40:41]
	v_mov_b64_e32 v[40:41], v[118:119]
	s_delay_alu instid0(VALU_DEP_3)
	v_cmpx_eq_u64_e64 v[62:63], v[60:61]
; %bb.513:                              ;   in Loop: Header=BB0_417 Depth=2
	v_bfe_u32 v40, v118, 20, 1
	v_mov_b32_e32 v41, v55
	s_delay_alu instid0(VALU_DEP_1) | instskip(NEXT) | instid1(VALU_DEP_1)
	v_add_nc_u64_e32 v[40:41], v[118:119], v[40:41]
	v_add_nc_u64_e32 v[40:41], -1, v[40:41]
; %bb.514:                              ;   in Loop: Header=BB0_417 Depth=2
	s_or_b32 exec_lo, exec_lo, s20
	v_add_nc_u32_e32 v119, 0xffffff81, v47
	v_lshrrev_b32_e32 v41, 23, v118
	s_mov_b32 s7, exec_lo
	s_delay_alu instid0(VALU_DEP_2) | instskip(NEXT) | instid1(VALU_DEP_1)
	v_cndmask_b32_e64 v119, v119, 0xffffff82, vcc_lo
	v_add3_u32 v41, v58, v119, v41
	v_and_b32_e32 v119, 0xfffff, v40
                                        ; implicit-def: $vgpr40
	s_delay_alu instid0(VALU_DEP_1) | instskip(SKIP_1) | instid1(VALU_DEP_2)
	v_dual_add_nc_u32 v47, 6, v41 :: v_dual_add_nc_u32 v118, v119, v118
	v_mov_b32_e32 v119, v55
	v_cmpx_ne_u32_e32 0, v47
	s_xor_b32 s7, exec_lo, s7
; %bb.515:                              ;   in Loop: Header=BB0_417 Depth=2
	s_delay_alu instid0(VALU_DEP_2) | instskip(SKIP_2) | instid1(VALU_DEP_2)
	v_cmp_lt_u64_e32 vcc_lo, 0xffffff, v[118:119]
	v_add_nc_u32_e32 v40, 7, v41
	v_cndmask_b32_e64 v41, 0, 1, vcc_lo
	v_cndmask_b32_e32 v40, v47, v40, vcc_lo
	s_delay_alu instid0(VALU_DEP_2)
	v_lshrrev_b64 v[118:119], v41, v[118:119]
; %bb.516:                              ;   in Loop: Header=BB0_417 Depth=2
	s_and_not1_saveexec_b32 s7, s7
; %bb.517:                              ;   in Loop: Header=BB0_417 Depth=2
	s_delay_alu instid0(VALU_DEP_1)
	v_bfe_u32 v40, v118, 23, 1
; %bb.518:                              ;   in Loop: Header=BB0_417 Depth=2
	s_or_b32 exec_lo, exec_lo, s7
	s_delay_alu instid0(VALU_DEP_2) | instskip(NEXT) | instid1(VALU_DEP_2)
	v_lshrrev_b64 v[118:119], 20, v[118:119]
	v_cmp_gt_i32_e32 vcc_lo, 16, v40
	v_min_i32_e32 v41, 15, v40
	v_cmp_eq_u32_e64 s7, 0, v40
	s_delay_alu instid0(VALU_DEP_2) | instskip(SKIP_1) | instid1(VALU_DEP_2)
	v_dual_cndmask_b32 v119, 0, v119, vcc_lo :: v_dual_lshlrev_b32 v41, 3, v41
	v_cndmask_b32_e32 v118, 7, v118, vcc_lo
	v_and_b32_e32 v41, 0xf8, v41
	s_delay_alu instid0(VALU_DEP_2) | instskip(NEXT) | instid1(VALU_DEP_2)
	v_cmp_eq_u64_e32 vcc_lo, 0, v[118:119]
	v_and_or_b32 v118, v118, 7, v41
	s_and_b32 s7, s7, vcc_lo
	s_delay_alu instid0(VALU_DEP_1) | instid1(SALU_CYCLE_1)
	v_cndmask_b32_e64 v118, v118, 0, s7
	s_delay_alu instid0(VALU_DEP_1)
	v_or_b32_e32 v40, v118, v3
.LBB0_519:                              ;   in Loop: Header=BB0_417 Depth=2
	s_or_b32 exec_lo, exec_lo, s19
                                        ; implicit-def: $vgpr3
.LBB0_520:                              ;   in Loop: Header=BB0_417 Depth=2
	s_and_not1_saveexec_b32 s7, s18
; %bb.521:                              ;   in Loop: Header=BB0_417 Depth=2
	v_or_b32_e32 v40, 0x7e, v3
; %bb.522:                              ;   in Loop: Header=BB0_417 Depth=2
	s_or_b32 exec_lo, exec_lo, s7
                                        ; implicit-def: $vgpr3
.LBB0_523:                              ;   in Loop: Header=BB0_417 Depth=2
	s_and_not1_saveexec_b32 s7, s17
; %bb.524:                              ;   in Loop: Header=BB0_417 Depth=2
	v_or_b32_e32 v40, 0x7f, v3
; %bb.525:                              ;   in Loop: Header=BB0_417 Depth=2
	s_or_b32 exec_lo, exec_lo, s7
	v_dual_mov_b32 v118, 0 :: v_dual_mov_b32 v3, 0
	s_mov_b32 s7, exec_lo
	v_cmpx_lt_u32_e32 0xffffff, v2
	s_cbranch_execz .LBB0_533
; %bb.526:                              ;   in Loop: Header=BB0_417 Depth=2
	v_lshrrev_b32_e32 v119, 24, v2
	v_bfrev_b32_e32 v3, 1
	s_mov_b32 s17, exec_lo
	s_delay_alu instid0(VALU_DEP_2)
	v_cmpx_ne_u32_e32 0x80, v119
	s_cbranch_execz .LBB0_532
; %bb.527:                              ;   in Loop: Header=BB0_417 Depth=2
	v_bfe_u32 v47, v2, 24, 7
	v_mov_b32_e32 v3, 0x7f800001
	s_mov_b32 s18, exec_lo
	s_delay_alu instid0(VALU_DEP_2)
	v_cmpx_ne_u32_e32 0x7f, v47
	s_cbranch_execz .LBB0_531
; %bb.528:                              ;   in Loop: Header=BB0_417 Depth=2
	v_dual_mov_b32 v3, v55 :: v_dual_bitop2_b32 v2, 7, v119 bitop3:0x40
	v_lshrrev_b32_e32 v41, 3, v47
	s_mov_b32 s19, exec_lo
	v_cmpx_gt_u32_e32 8, v47
; %bb.529:                              ;   in Loop: Header=BB0_417 Depth=2
	s_delay_alu instid0(VALU_DEP_3) | instskip(NEXT) | instid1(VALU_DEP_1)
	v_clz_i32_u32_e32 v41, v2
	v_min_u32_e32 v41, 32, v41
	s_delay_alu instid0(VALU_DEP_1) | instskip(NEXT) | instid1(VALU_DEP_1)
	v_subrev_nc_u32_e32 v47, 28, v41
	v_lshlrev_b64_e32 v[2:3], v47, v[2:3]
	s_delay_alu instid0(VALU_DEP_1)
	v_dual_sub_nc_u32 v41, 29, v41 :: v_dual_bitop2_b32 v2, 7, v2 bitop3:0x40
; %bb.530:                              ;   in Loop: Header=BB0_417 Depth=2
	s_or_b32 exec_lo, exec_lo, s19
	s_delay_alu instid0(VALU_DEP_1) | instskip(NEXT) | instid1(VALU_DEP_2)
	v_dual_lshlrev_b32 v3, 24, v119 :: v_dual_lshlrev_b32 v2, 20, v2
	v_lshl_add_u32 v119, v41, 23, 0x3c000000
	s_delay_alu instid0(VALU_DEP_2) | instskip(NEXT) | instid1(VALU_DEP_1)
	v_and_b32_e32 v3, 0x80000000, v3
	v_or3_b32 v3, v2, v3, v119
.LBB0_531:                              ;   in Loop: Header=BB0_417 Depth=2
	s_or_b32 exec_lo, exec_lo, s18
.LBB0_532:                              ;   in Loop: Header=BB0_417 Depth=2
	s_delay_alu instid0(SALU_CYCLE_1)
	s_or_b32 exec_lo, exec_lo, s17
.LBB0_533:                              ;   in Loop: Header=BB0_417 Depth=2
	s_delay_alu instid0(SALU_CYCLE_1) | instskip(NEXT) | instid1(SALU_CYCLE_1)
	s_or_b32 exec_lo, exec_lo, s7
	s_mov_b32 s7, exec_lo
	v_cmpx_lt_u32_e32 0xffffff, v54
	s_cbranch_execz .LBB0_541
; %bb.534:                              ;   in Loop: Header=BB0_417 Depth=2
	v_lshrrev_b32_e32 v2, 24, v54
	v_bfrev_b32_e32 v118, 1
	s_mov_b32 s17, exec_lo
	s_delay_alu instid0(VALU_DEP_2)
	v_cmpx_ne_u32_e32 0x80, v2
	s_cbranch_execz .LBB0_540
; %bb.535:                              ;   in Loop: Header=BB0_417 Depth=2
	v_bfe_u32 v119, v54, 24, 7
	v_mov_b32_e32 v118, 0x7f800001
	s_mov_b32 s18, exec_lo
	s_delay_alu instid0(VALU_DEP_2)
	v_cmpx_ne_u32_e32 0x7f, v119
	s_cbranch_execz .LBB0_539
; %bb.536:                              ;   in Loop: Header=BB0_417 Depth=2
	v_dual_lshrrev_b32 v118, 3, v119 :: v_dual_bitop2_b32 v54, 7, v2 bitop3:0x40
	s_mov_b32 s19, exec_lo
	v_cmpx_gt_u32_e32 8, v119
; %bb.537:                              ;   in Loop: Header=BB0_417 Depth=2
	s_delay_alu instid0(VALU_DEP_2) | instskip(NEXT) | instid1(VALU_DEP_1)
	v_clz_i32_u32_e32 v118, v54
	v_min_u32_e32 v118, 32, v118
	s_delay_alu instid0(VALU_DEP_1) | instskip(SKIP_1) | instid1(VALU_DEP_2)
	v_subrev_nc_u32_e32 v119, 28, v118
	v_sub_nc_u32_e32 v118, 29, v118
	v_lshlrev_b64_e32 v[58:59], v119, v[54:55]
	s_delay_alu instid0(VALU_DEP_1)
	v_and_b32_e32 v54, 7, v58
; %bb.538:                              ;   in Loop: Header=BB0_417 Depth=2
	s_or_b32 exec_lo, exec_lo, s19
	v_lshlrev_b32_e32 v2, 24, v2
	s_delay_alu instid0(VALU_DEP_2) | instskip(SKIP_1) | instid1(VALU_DEP_3)
	v_lshlrev_b32_e32 v54, 20, v54
	v_lshl_add_u32 v118, v118, 23, 0x3c000000
	v_and_b32_e32 v2, 0x80000000, v2
	s_delay_alu instid0(VALU_DEP_1)
	v_or3_b32 v118, v54, v2, v118
.LBB0_539:                              ;   in Loop: Header=BB0_417 Depth=2
	s_or_b32 exec_lo, exec_lo, s18
.LBB0_540:                              ;   in Loop: Header=BB0_417 Depth=2
	s_delay_alu instid0(SALU_CYCLE_1)
	s_or_b32 exec_lo, exec_lo, s17
.LBB0_541:                              ;   in Loop: Header=BB0_417 Depth=2
	s_delay_alu instid0(SALU_CYCLE_1) | instskip(NEXT) | instid1(VALU_DEP_1)
	s_or_b32 exec_lo, exec_lo, s7
	v_add_f32_e32 v2, v3, v118
                                        ; implicit-def: $vgpr41
	s_mov_b32 s7, exec_lo
	s_delay_alu instid0(VALU_DEP_1) | instskip(SKIP_1) | instid1(VALU_DEP_2)
	v_and_b32_e32 v54, 0x7f800000, v2
	v_lshrrev_b32_e32 v3, 24, v2
	v_cmpx_ne_u64_e32 0x7f800000, v[54:55]
	s_xor_b32 s17, exec_lo, s7
	s_cbranch_execz .LBB0_555
; %bb.542:                              ;   in Loop: Header=BB0_417 Depth=2
	v_and_b32_e32 v54, 0x7fffffff, v2
	v_and_b32_e32 v47, 0x80, v3
                                        ; implicit-def: $vgpr41
	s_mov_b32 s7, exec_lo
	s_delay_alu instid0(VALU_DEP_2)
	v_cmpx_gt_u64_e32 0x43e00001, v[54:55]
	s_xor_b32 s18, exec_lo, s7
	s_cbranch_execz .LBB0_552
; %bb.543:                              ;   in Loop: Header=BB0_417 Depth=2
	v_mov_b32_e32 v41, 0
	s_mov_b32 s19, exec_lo
	v_cmpx_ne_u32_e32 0, v2
	s_cbranch_execz .LBB0_551
; %bb.544:                              ;   in Loop: Header=BB0_417 Depth=2
	v_bfe_u32 v41, v2, 23, 8
	v_and_b32_e32 v54, 0x7fffff, v2
	s_delay_alu instid0(VALU_DEP_2) | instskip(NEXT) | instid1(VALU_DEP_2)
	v_cmp_gt_u32_e32 vcc_lo, 0x7a, v41
	v_or_b32_e32 v118, 0x800000, v54
	v_sub_nc_u32_e32 v3, 0x79, v41
	s_delay_alu instid0(VALU_DEP_1) | instskip(SKIP_1) | instid1(VALU_DEP_2)
	v_cndmask_b32_e32 v3, 0, v3, vcc_lo
	v_cmp_eq_u32_e32 vcc_lo, 0, v41
	v_cndmask_b32_e64 v58, v3, 0x78, vcc_lo
	v_cndmask_b32_e32 v54, v118, v54, vcc_lo
	s_delay_alu instid0(VALU_DEP_2) | instskip(NEXT) | instid1(VALU_DEP_1)
	v_dual_add_nc_u32 v2, 20, v58 :: v_dual_add_nc_u32 v119, 19, v58
	v_lshlrev_b64_e64 v[2:3], v2, -1
	s_delay_alu instid0(VALU_DEP_2) | instskip(NEXT) | instid1(VALU_DEP_2)
	v_lshlrev_b64_e64 v[118:119], v119, 1
	v_bfi_b32 v61, v3, 0, 0
	s_delay_alu instid0(VALU_DEP_3) | instskip(SKIP_1) | instid1(VALU_DEP_2)
	v_bfi_b32 v60, v2, 0, v54
	v_lshrrev_b64 v[2:3], v58, v[54:55]
	v_cmp_eq_u64_e64 s7, v[60:61], v[118:119]
	s_delay_alu instid0(VALU_DEP_2)
	v_mov_b64_e32 v[118:119], v[2:3]
	s_and_saveexec_b32 s20, s7
; %bb.545:                              ;   in Loop: Header=BB0_417 Depth=2
	v_bfe_u32 v54, v2, 20, 1
	s_delay_alu instid0(VALU_DEP_1) | instskip(NEXT) | instid1(VALU_DEP_1)
	v_add_nc_u64_e32 v[118:119], v[2:3], v[54:55]
	v_add_nc_u64_e32 v[118:119], -1, v[118:119]
; %bb.546:                              ;   in Loop: Header=BB0_417 Depth=2
	s_or_b32 exec_lo, exec_lo, s20
	v_add_nc_u32_e32 v3, 0xffffff81, v41
	v_lshrrev_b32_e32 v54, 23, v2
	s_mov_b32 s7, exec_lo
	s_delay_alu instid0(VALU_DEP_2) | instskip(NEXT) | instid1(VALU_DEP_1)
	v_cndmask_b32_e64 v3, v3, 0xffffff82, vcc_lo
	v_add3_u32 v119, v58, v3, v54
	v_and_b32_e32 v3, 0xfffff, v118
                                        ; implicit-def: $vgpr118
	s_delay_alu instid0(VALU_DEP_1) | instskip(NEXT) | instid1(VALU_DEP_1)
	v_dual_add_nc_u32 v41, 6, v119 :: v_dual_add_nc_u32 v54, v3, v2
                                        ; implicit-def: $vgpr2_vgpr3
	v_cmpx_ne_u32_e32 0, v41
	s_xor_b32 s7, exec_lo, s7
; %bb.547:                              ;   in Loop: Header=BB0_417 Depth=2
	s_delay_alu instid0(VALU_DEP_2) | instskip(SKIP_1) | instid1(VALU_DEP_1)
	v_cmp_lt_u64_e32 vcc_lo, 0xffffff, v[54:55]
	v_add_nc_u32_e32 v2, 7, v119
	v_cndmask_b32_e32 v118, v41, v2, vcc_lo
	v_cndmask_b32_e64 v2, 0, 1, vcc_lo
	s_delay_alu instid0(VALU_DEP_1)
	v_lshrrev_b64 v[2:3], v2, v[54:55]
; %bb.548:                              ;   in Loop: Header=BB0_417 Depth=2
	s_and_not1_saveexec_b32 s7, s7
; %bb.549:                              ;   in Loop: Header=BB0_417 Depth=2
	v_mov_b64_e32 v[2:3], v[54:55]
	v_bfe_u32 v118, v54, 23, 1
; %bb.550:                              ;   in Loop: Header=BB0_417 Depth=2
	s_or_b32 exec_lo, exec_lo, s7
	s_delay_alu instid0(VALU_DEP_2) | instskip(NEXT) | instid1(VALU_DEP_2)
	v_lshrrev_b64 v[2:3], 20, v[2:3]
	v_cmp_gt_i32_e32 vcc_lo, 16, v118
	v_min_i32_e32 v54, 15, v118
	v_cmp_eq_u32_e64 s7, 0, v118
	s_delay_alu instid0(VALU_DEP_2) | instskip(SKIP_1) | instid1(VALU_DEP_2)
	v_dual_cndmask_b32 v3, 0, v3 :: v_dual_lshlrev_b32 v54, 3, v54
	v_cndmask_b32_e32 v2, 7, v2, vcc_lo
	v_and_b32_e32 v54, 0xf8, v54
	s_delay_alu instid0(VALU_DEP_2) | instskip(NEXT) | instid1(VALU_DEP_2)
	v_cmp_eq_u64_e32 vcc_lo, 0, v[2:3]
	v_and_or_b32 v2, v2, 7, v54
	s_and_b32 s7, s7, vcc_lo
	s_delay_alu instid0(VALU_DEP_1) | instid1(SALU_CYCLE_1)
	v_cndmask_b32_e64 v2, v2, 0, s7
	s_delay_alu instid0(VALU_DEP_1)
	v_or_b32_e32 v41, v2, v47
.LBB0_551:                              ;   in Loop: Header=BB0_417 Depth=2
	s_or_b32 exec_lo, exec_lo, s19
                                        ; implicit-def: $vgpr47
.LBB0_552:                              ;   in Loop: Header=BB0_417 Depth=2
	s_and_not1_saveexec_b32 s7, s18
; %bb.553:                              ;   in Loop: Header=BB0_417 Depth=2
	v_or_b32_e32 v41, 0x7e, v47
; %bb.554:                              ;   in Loop: Header=BB0_417 Depth=2
	s_or_b32 exec_lo, exec_lo, s7
                                        ; implicit-def: $vgpr3
.LBB0_555:                              ;   in Loop: Header=BB0_417 Depth=2
	s_and_not1_saveexec_b32 s7, s17
; %bb.556:                              ;   in Loop: Header=BB0_417 Depth=2
	v_or_b32_e32 v41, 0x7f, v3
; %bb.557:                              ;   in Loop: Header=BB0_417 Depth=2
	s_or_b32 exec_lo, exec_lo, s7
	v_and_b32_e32 v54, 0xff, v4
	v_dual_mov_b32 v2, 0 :: v_dual_mov_b32 v3, 0
	s_mov_b32 s7, exec_lo
	s_delay_alu instid0(VALU_DEP_2)
	v_cmpx_ne_u16_e32 0, v54
	s_cbranch_execz .LBB0_563
; %bb.558:                              ;   in Loop: Header=BB0_417 Depth=2
	v_bfrev_b32_e32 v3, 1
	s_mov_b32 s17, exec_lo
	v_cmpx_ne_u16_e32 0x80, v54
	s_cbranch_execz .LBB0_562
; %bb.559:                              ;   in Loop: Header=BB0_417 Depth=2
	v_and_b32_e32 v54, 0x7f, v4
	v_mov_b32_e32 v3, 0x7f800001
	s_mov_b32 s18, exec_lo
	s_delay_alu instid0(VALU_DEP_2)
	v_cmpx_ne_u32_e32 0x7f, v54
	s_cbranch_execz .LBB0_561
; %bb.560:                              ;   in Loop: Header=BB0_417 Depth=2
	v_dual_lshrrev_b32 v118, 3, v54 :: v_dual_bitop2_b32 v3, 7, v4 bitop3:0x40
	v_cmp_gt_u32_e32 vcc_lo, 8, v54
	s_delay_alu instid0(VALU_DEP_2) | instskip(NEXT) | instid1(VALU_DEP_1)
	v_clz_i32_u32_e32 v3, v3
	v_min_u32_e32 v3, 32, v3
	s_delay_alu instid0(VALU_DEP_1) | instskip(SKIP_1) | instid1(VALU_DEP_2)
	v_subrev_nc_u32_e32 v119, 28, v3
	v_sub_nc_u32_e32 v3, 29, v3
	v_cndmask_b32_e32 v54, 0, v119, vcc_lo
	s_delay_alu instid0(VALU_DEP_2) | instskip(NEXT) | instid1(VALU_DEP_2)
	v_cndmask_b32_e32 v3, v118, v3, vcc_lo
	v_lshlrev_b64_e32 v[118:119], v54, v[4:5]
	v_lshlrev_b32_e32 v5, 24, v4
	s_delay_alu instid0(VALU_DEP_1) | instskip(NEXT) | instid1(VALU_DEP_3)
	v_and_b32_e32 v5, 0x80000000, v5
	v_lshlrev_b32_e32 v54, 20, v118
	v_lshl_add_u32 v3, v3, 23, 0x3c000000
	s_delay_alu instid0(VALU_DEP_2) | instskip(NEXT) | instid1(VALU_DEP_1)
	v_and_b32_e32 v54, 0x700000, v54
	v_or3_b32 v3, v54, v5, v3
.LBB0_561:                              ;   in Loop: Header=BB0_417 Depth=2
	s_or_b32 exec_lo, exec_lo, s18
.LBB0_562:                              ;   in Loop: Header=BB0_417 Depth=2
	s_delay_alu instid0(SALU_CYCLE_1)
	s_or_b32 exec_lo, exec_lo, s17
.LBB0_563:                              ;   in Loop: Header=BB0_417 Depth=2
	s_delay_alu instid0(SALU_CYCLE_1) | instskip(SKIP_2) | instid1(VALU_DEP_1)
	s_or_b32 exec_lo, exec_lo, s7
	v_alignbit_b32 v54, v44, v45, v46
	s_mov_b32 s7, exec_lo
	v_and_b32_e32 v5, 0xff, v54
	s_delay_alu instid0(VALU_DEP_1)
	v_cmpx_ne_u16_e32 0, v5
	s_cbranch_execz .LBB0_569
; %bb.564:                              ;   in Loop: Header=BB0_417 Depth=2
	v_bfrev_b32_e32 v2, 1
	s_mov_b32 s17, exec_lo
	v_cmpx_ne_u16_e32 0x80, v5
	s_cbranch_execz .LBB0_568
; %bb.565:                              ;   in Loop: Header=BB0_417 Depth=2
	v_and_b32_e32 v5, 0x7f, v54
	v_mov_b32_e32 v2, 0x7f800001
	s_mov_b32 s18, exec_lo
	s_delay_alu instid0(VALU_DEP_2)
	v_cmpx_ne_u32_e32 0x7f, v5
	s_cbranch_execz .LBB0_567
; %bb.566:                              ;   in Loop: Header=BB0_417 Depth=2
	v_dual_lshrrev_b32 v118, 3, v5 :: v_dual_bitop2_b32 v2, 7, v54 bitop3:0x40
	v_cmp_gt_u32_e32 vcc_lo, 8, v5
	s_delay_alu instid0(VALU_DEP_2) | instskip(NEXT) | instid1(VALU_DEP_1)
	v_clz_i32_u32_e32 v2, v2
	v_min_u32_e32 v2, 32, v2
	s_delay_alu instid0(VALU_DEP_1) | instskip(NEXT) | instid1(VALU_DEP_1)
	v_subrev_nc_u32_e32 v119, 28, v2
	v_dual_cndmask_b32 v5, 0, v119 :: v_dual_sub_nc_u32 v2, 29, v2
	s_delay_alu instid0(VALU_DEP_1) | instskip(NEXT) | instid1(VALU_DEP_2)
	v_cndmask_b32_e32 v2, v118, v2, vcc_lo
	v_lshlrev_b64_e32 v[118:119], v5, v[54:55]
	v_lshlrev_b32_e32 v5, 24, v54
	s_delay_alu instid0(VALU_DEP_3) | instskip(NEXT) | instid1(VALU_DEP_2)
	v_lshl_add_u32 v2, v2, 23, 0x3c000000
	v_and_b32_e32 v5, 0x80000000, v5
	s_delay_alu instid0(VALU_DEP_4) | instskip(NEXT) | instid1(VALU_DEP_1)
	v_lshlrev_b32_e32 v118, 20, v118
	v_and_b32_e32 v118, 0x700000, v118
	s_delay_alu instid0(VALU_DEP_1)
	v_or3_b32 v2, v118, v5, v2
.LBB0_567:                              ;   in Loop: Header=BB0_417 Depth=2
	s_or_b32 exec_lo, exec_lo, s18
.LBB0_568:                              ;   in Loop: Header=BB0_417 Depth=2
	s_delay_alu instid0(SALU_CYCLE_1)
	s_or_b32 exec_lo, exec_lo, s17
.LBB0_569:                              ;   in Loop: Header=BB0_417 Depth=2
	s_delay_alu instid0(SALU_CYCLE_1) | instskip(NEXT) | instid1(VALU_DEP_1)
	s_or_b32 exec_lo, exec_lo, s7
	v_add_f32_e32 v2, v3, v2
	v_mov_b32_e32 v119, v55
                                        ; implicit-def: $vgpr44
	s_mov_b32 s7, exec_lo
	s_delay_alu instid0(VALU_DEP_2) | instskip(SKIP_1) | instid1(VALU_DEP_2)
	v_and_b32_e32 v118, 0x7f800000, v2
	v_lshrrev_b32_e32 v3, 24, v2
	v_cmpx_ne_u64_e32 0x7f800000, v[118:119]
	s_xor_b32 s17, exec_lo, s7
	s_cbranch_execz .LBB0_583
; %bb.570:                              ;   in Loop: Header=BB0_417 Depth=2
	v_and_b32_e32 v118, 0x7fffffff, v2
	v_mov_b32_e32 v119, v55
	v_and_b32_e32 v5, 0x80, v3
                                        ; implicit-def: $vgpr44
	s_mov_b32 s7, exec_lo
	s_delay_alu instid0(VALU_DEP_2)
	v_cmpx_gt_u64_e32 0x43e00001, v[118:119]
	s_xor_b32 s18, exec_lo, s7
	s_cbranch_execz .LBB0_580
; %bb.571:                              ;   in Loop: Header=BB0_417 Depth=2
	v_mov_b32_e32 v44, 0
	s_mov_b32 s19, exec_lo
	v_cmpx_ne_u32_e32 0, v2
	s_cbranch_execz .LBB0_579
; %bb.572:                              ;   in Loop: Header=BB0_417 Depth=2
	v_bfe_u32 v44, v2, 23, 8
	v_and_b32_e32 v118, 0x7fffff, v2
	s_mov_b32 s20, exec_lo
	s_delay_alu instid0(VALU_DEP_2) | instskip(NEXT) | instid1(VALU_DEP_2)
	v_cmp_gt_u32_e32 vcc_lo, 0x7a, v44
	v_or_b32_e32 v119, 0x800000, v118
	v_sub_nc_u32_e32 v3, 0x79, v44
	s_delay_alu instid0(VALU_DEP_1) | instskip(SKIP_1) | instid1(VALU_DEP_2)
	v_cndmask_b32_e32 v3, 0, v3, vcc_lo
	v_cmp_eq_u32_e32 vcc_lo, 0, v44
	v_cndmask_b32_e64 v45, v3, 0x78, vcc_lo
	v_cndmask_b32_e32 v118, v119, v118, vcc_lo
	s_delay_alu instid0(VALU_DEP_2) | instskip(SKIP_1) | instid1(VALU_DEP_2)
	v_dual_mov_b32 v119, v55 :: v_dual_add_nc_u32 v46, 19, v45
	v_add_nc_u32_e32 v2, 20, v45
	v_lshlrev_b64_e64 v[46:47], v46, 1
	s_delay_alu instid0(VALU_DEP_2) | instskip(NEXT) | instid1(VALU_DEP_1)
	v_lshlrev_b64_e64 v[2:3], v2, -1
	v_bfi_b32 v59, v3, 0, 0
	s_delay_alu instid0(VALU_DEP_2) | instskip(SKIP_1) | instid1(VALU_DEP_1)
	v_bfi_b32 v58, v2, 0, v118
	v_lshrrev_b64 v[2:3], v45, v[118:119]
	v_mov_b64_e32 v[118:119], v[2:3]
	s_delay_alu instid0(VALU_DEP_3)
	v_cmpx_eq_u64_e64 v[58:59], v[46:47]
; %bb.573:                              ;   in Loop: Header=BB0_417 Depth=2
	v_bfe_u32 v118, v2, 20, 1
	v_mov_b32_e32 v119, v55
	s_delay_alu instid0(VALU_DEP_1) | instskip(NEXT) | instid1(VALU_DEP_1)
	v_add_nc_u64_e32 v[118:119], v[2:3], v[118:119]
	v_add_nc_u64_e32 v[118:119], -1, v[118:119]
; %bb.574:                              ;   in Loop: Header=BB0_417 Depth=2
	s_or_b32 exec_lo, exec_lo, s20
	v_add_nc_u32_e32 v3, 0xffffff81, v44
	v_lshrrev_b32_e32 v119, 23, v2
	s_mov_b32 s7, exec_lo
	s_delay_alu instid0(VALU_DEP_2) | instskip(NEXT) | instid1(VALU_DEP_1)
	v_cndmask_b32_e64 v3, v3, 0xffffff82, vcc_lo
	v_add3_u32 v119, v45, v3, v119
	v_and_b32_e32 v3, 0xfffff, v118
                                        ; implicit-def: $vgpr118
	s_delay_alu instid0(VALU_DEP_1) | instskip(SKIP_1) | instid1(VALU_DEP_2)
	v_dual_add_nc_u32 v44, 6, v119 :: v_dual_add_nc_u32 v2, v3, v2
	v_mov_b32_e32 v3, v55
	v_cmpx_ne_u32_e32 0, v44
	s_xor_b32 s7, exec_lo, s7
; %bb.575:                              ;   in Loop: Header=BB0_417 Depth=2
	s_delay_alu instid0(VALU_DEP_2) | instskip(SKIP_2) | instid1(VALU_DEP_2)
	v_cmp_lt_u64_e32 vcc_lo, 0xffffff, v[2:3]
	v_add_nc_u32_e32 v118, 7, v119
	v_cndmask_b32_e64 v119, 0, 1, vcc_lo
	v_cndmask_b32_e32 v118, v44, v118, vcc_lo
	s_delay_alu instid0(VALU_DEP_2)
	v_lshrrev_b64 v[2:3], v119, v[2:3]
; %bb.576:                              ;   in Loop: Header=BB0_417 Depth=2
	s_and_not1_saveexec_b32 s7, s7
; %bb.577:                              ;   in Loop: Header=BB0_417 Depth=2
	s_delay_alu instid0(VALU_DEP_1)
	v_bfe_u32 v118, v2, 23, 1
; %bb.578:                              ;   in Loop: Header=BB0_417 Depth=2
	s_or_b32 exec_lo, exec_lo, s7
	s_delay_alu instid0(VALU_DEP_2) | instskip(NEXT) | instid1(VALU_DEP_2)
	v_lshrrev_b64 v[2:3], 20, v[2:3]
	v_cmp_gt_i32_e32 vcc_lo, 16, v118
	v_min_i32_e32 v119, 15, v118
	v_cmp_eq_u32_e64 s7, 0, v118
	s_delay_alu instid0(VALU_DEP_4) | instskip(NEXT) | instid1(VALU_DEP_3)
	v_cndmask_b32_e32 v3, 0, v3, vcc_lo
	v_dual_cndmask_b32 v2, 7, v2 :: v_dual_lshlrev_b32 v119, 3, v119
	s_delay_alu instid0(VALU_DEP_1) | instskip(NEXT) | instid1(VALU_DEP_2)
	v_and_b32_e32 v119, 0xf8, v119
	v_cmp_eq_u64_e32 vcc_lo, 0, v[2:3]
	s_delay_alu instid0(VALU_DEP_2)
	v_and_or_b32 v2, v2, 7, v119
	s_and_b32 s7, s7, vcc_lo
	s_delay_alu instid0(VALU_DEP_1) | instid1(SALU_CYCLE_1)
	v_cndmask_b32_e64 v2, v2, 0, s7
	s_delay_alu instid0(VALU_DEP_1)
	v_or_b32_e32 v44, v2, v5
.LBB0_579:                              ;   in Loop: Header=BB0_417 Depth=2
	s_or_b32 exec_lo, exec_lo, s19
                                        ; implicit-def: $vgpr5
.LBB0_580:                              ;   in Loop: Header=BB0_417 Depth=2
	s_and_not1_saveexec_b32 s7, s18
; %bb.581:                              ;   in Loop: Header=BB0_417 Depth=2
	v_or_b32_e32 v44, 0x7e, v5
; %bb.582:                              ;   in Loop: Header=BB0_417 Depth=2
	s_or_b32 exec_lo, exec_lo, s7
                                        ; implicit-def: $vgpr3
.LBB0_583:                              ;   in Loop: Header=BB0_417 Depth=2
	s_and_not1_saveexec_b32 s7, s17
; %bb.584:                              ;   in Loop: Header=BB0_417 Depth=2
	v_or_b32_e32 v44, 0x7f, v3
; %bb.585:                              ;   in Loop: Header=BB0_417 Depth=2
	s_or_b32 exec_lo, exec_lo, s7
	v_lshrrev_b16 v2, 8, v4
	v_dual_mov_b32 v5, 0 :: v_dual_mov_b32 v118, 0
	s_mov_b32 s7, exec_lo
	s_delay_alu instid0(VALU_DEP_2)
	v_cmpx_ne_u16_e32 0, v2
	s_cbranch_execz .LBB0_593
; %bb.586:                              ;   in Loop: Header=BB0_417 Depth=2
	v_bfrev_b32_e32 v118, 1
	s_mov_b32 s17, exec_lo
	v_cmpx_ne_u16_e32 0x80, v2
	s_cbranch_execz .LBB0_592
; %bb.587:                              ;   in Loop: Header=BB0_417 Depth=2
	v_and_b32_e32 v2, 0xffff, v2
	v_mov_b32_e32 v118, 0x7f800001
	s_mov_b32 s18, exec_lo
	s_delay_alu instid0(VALU_DEP_2) | instskip(NEXT) | instid1(VALU_DEP_1)
	v_and_b32_e32 v119, 0x7f, v2
	v_cmpx_ne_u32_e32 0x7f, v119
	s_cbranch_execz .LBB0_591
; %bb.588:                              ;   in Loop: Header=BB0_417 Depth=2
	v_dual_mov_b32 v3, v55 :: v_dual_bitop2_b32 v2, 7, v2 bitop3:0x40
	v_lshrrev_b32_e32 v118, 3, v119
	s_mov_b32 s19, exec_lo
	v_cmpx_gt_u32_e32 8, v119
; %bb.589:                              ;   in Loop: Header=BB0_417 Depth=2
	s_delay_alu instid0(VALU_DEP_3) | instskip(NEXT) | instid1(VALU_DEP_1)
	v_clz_i32_u32_e32 v118, v2
	v_min_u32_e32 v118, 32, v118
	s_delay_alu instid0(VALU_DEP_1) | instskip(SKIP_1) | instid1(VALU_DEP_2)
	v_subrev_nc_u32_e32 v119, 28, v118
	v_sub_nc_u32_e32 v118, 29, v118
	v_lshlrev_b64_e32 v[2:3], v119, v[2:3]
	s_delay_alu instid0(VALU_DEP_1)
	v_and_b32_e32 v2, 7, v2
; %bb.590:                              ;   in Loop: Header=BB0_417 Depth=2
	s_or_b32 exec_lo, exec_lo, s19
	s_delay_alu instid0(VALU_DEP_1) | instskip(SKIP_1) | instid1(VALU_DEP_2)
	v_dual_lshlrev_b32 v3, 16, v4 :: v_dual_lshlrev_b32 v2, 20, v2
	v_lshl_add_u32 v118, v118, 23, 0x3c000000
	v_and_b32_e32 v3, 0x80000000, v3
	s_delay_alu instid0(VALU_DEP_1)
	v_or3_b32 v118, v2, v3, v118
.LBB0_591:                              ;   in Loop: Header=BB0_417 Depth=2
	s_or_b32 exec_lo, exec_lo, s18
.LBB0_592:                              ;   in Loop: Header=BB0_417 Depth=2
	s_delay_alu instid0(SALU_CYCLE_1)
	s_or_b32 exec_lo, exec_lo, s17
.LBB0_593:                              ;   in Loop: Header=BB0_417 Depth=2
	s_delay_alu instid0(SALU_CYCLE_1) | instskip(SKIP_2) | instid1(VALU_DEP_1)
	s_or_b32 exec_lo, exec_lo, s7
	v_lshrrev_b16 v2, 8, v54
	s_mov_b32 s7, exec_lo
	v_cmpx_ne_u16_e32 0, v2
	s_cbranch_execz .LBB0_601
; %bb.594:                              ;   in Loop: Header=BB0_417 Depth=2
	v_bfrev_b32_e32 v5, 1
	s_mov_b32 s17, exec_lo
	v_cmpx_ne_u16_e32 0x80, v2
	s_cbranch_execz .LBB0_600
; %bb.595:                              ;   in Loop: Header=BB0_417 Depth=2
	v_and_b32_e32 v2, 0xffff, v2
	v_mov_b32_e32 v5, 0x7f800001
	s_mov_b32 s18, exec_lo
	s_delay_alu instid0(VALU_DEP_2) | instskip(NEXT) | instid1(VALU_DEP_1)
	v_and_b32_e32 v119, 0x7f, v2
	v_cmpx_ne_u32_e32 0x7f, v119
	s_cbranch_execz .LBB0_599
; %bb.596:                              ;   in Loop: Header=BB0_417 Depth=2
	v_dual_mov_b32 v3, v55 :: v_dual_bitop2_b32 v2, 7, v2 bitop3:0x40
	v_lshrrev_b32_e32 v5, 3, v119
	s_mov_b32 s19, exec_lo
	v_cmpx_gt_u32_e32 8, v119
; %bb.597:                              ;   in Loop: Header=BB0_417 Depth=2
	s_delay_alu instid0(VALU_DEP_3) | instskip(NEXT) | instid1(VALU_DEP_1)
	v_clz_i32_u32_e32 v5, v2
	v_min_u32_e32 v5, 32, v5
	s_delay_alu instid0(VALU_DEP_1) | instskip(NEXT) | instid1(VALU_DEP_1)
	v_subrev_nc_u32_e32 v119, 28, v5
	v_lshlrev_b64_e32 v[2:3], v119, v[2:3]
	s_delay_alu instid0(VALU_DEP_1)
	v_dual_sub_nc_u32 v5, 29, v5 :: v_dual_bitop2_b32 v2, 7, v2 bitop3:0x40
; %bb.598:                              ;   in Loop: Header=BB0_417 Depth=2
	s_or_b32 exec_lo, exec_lo, s19
	v_lshlrev_b32_e32 v3, 16, v54
	s_delay_alu instid0(VALU_DEP_2) | instskip(NEXT) | instid1(VALU_DEP_3)
	v_lshlrev_b32_e32 v2, 20, v2
	v_lshl_add_u32 v5, v5, 23, 0x3c000000
	s_delay_alu instid0(VALU_DEP_3) | instskip(NEXT) | instid1(VALU_DEP_1)
	v_and_b32_e32 v3, 0x80000000, v3
	v_or3_b32 v5, v2, v3, v5
.LBB0_599:                              ;   in Loop: Header=BB0_417 Depth=2
	s_or_b32 exec_lo, exec_lo, s18
.LBB0_600:                              ;   in Loop: Header=BB0_417 Depth=2
	s_delay_alu instid0(SALU_CYCLE_1)
	s_or_b32 exec_lo, exec_lo, s17
.LBB0_601:                              ;   in Loop: Header=BB0_417 Depth=2
	s_delay_alu instid0(SALU_CYCLE_1) | instskip(NEXT) | instid1(VALU_DEP_1)
	s_or_b32 exec_lo, exec_lo, s7
	v_dual_add_f32 v2, v118, v5 :: v_dual_mov_b32 v119, v55
                                        ; implicit-def: $vgpr45
	s_mov_b32 s7, exec_lo
	s_delay_alu instid0(VALU_DEP_1) | instskip(SKIP_1) | instid1(VALU_DEP_2)
	v_and_b32_e32 v118, 0x7f800000, v2
	v_lshrrev_b32_e32 v3, 24, v2
	v_cmpx_ne_u64_e32 0x7f800000, v[118:119]
	s_xor_b32 s17, exec_lo, s7
	s_cbranch_execz .LBB0_615
; %bb.602:                              ;   in Loop: Header=BB0_417 Depth=2
	v_and_b32_e32 v118, 0x7fffffff, v2
	v_mov_b32_e32 v119, v55
	v_and_b32_e32 v5, 0x80, v3
                                        ; implicit-def: $vgpr45
	s_mov_b32 s7, exec_lo
	s_delay_alu instid0(VALU_DEP_2)
	v_cmpx_gt_u64_e32 0x43e00001, v[118:119]
	s_xor_b32 s18, exec_lo, s7
	s_cbranch_execz .LBB0_612
; %bb.603:                              ;   in Loop: Header=BB0_417 Depth=2
	v_mov_b32_e32 v45, 0
	s_mov_b32 s19, exec_lo
	v_cmpx_ne_u32_e32 0, v2
	s_cbranch_execz .LBB0_611
; %bb.604:                              ;   in Loop: Header=BB0_417 Depth=2
	v_bfe_u32 v45, v2, 23, 8
	v_and_b32_e32 v118, 0x7fffff, v2
	s_mov_b32 s20, exec_lo
	s_delay_alu instid0(VALU_DEP_2) | instskip(NEXT) | instid1(VALU_DEP_2)
	v_cmp_gt_u32_e32 vcc_lo, 0x7a, v45
	v_or_b32_e32 v119, 0x800000, v118
	v_sub_nc_u32_e32 v3, 0x79, v45
	s_delay_alu instid0(VALU_DEP_1) | instskip(SKIP_1) | instid1(VALU_DEP_2)
	v_cndmask_b32_e32 v3, 0, v3, vcc_lo
	v_cmp_eq_u32_e32 vcc_lo, 0, v45
	v_cndmask_b32_e64 v46, v3, 0x78, vcc_lo
	v_cndmask_b32_e32 v118, v119, v118, vcc_lo
	s_delay_alu instid0(VALU_DEP_2) | instskip(SKIP_1) | instid1(VALU_DEP_2)
	v_dual_mov_b32 v119, v55 :: v_dual_add_nc_u32 v47, 19, v46
	v_add_nc_u32_e32 v2, 20, v46
	v_lshlrev_b64_e64 v[58:59], v47, 1
	s_delay_alu instid0(VALU_DEP_2) | instskip(NEXT) | instid1(VALU_DEP_1)
	v_lshlrev_b64_e64 v[2:3], v2, -1
	v_bfi_b32 v61, v3, 0, 0
	s_delay_alu instid0(VALU_DEP_2) | instskip(SKIP_1) | instid1(VALU_DEP_1)
	v_bfi_b32 v60, v2, 0, v118
	v_lshrrev_b64 v[2:3], v46, v[118:119]
	v_mov_b64_e32 v[118:119], v[2:3]
	s_delay_alu instid0(VALU_DEP_3)
	v_cmpx_eq_u64_e64 v[60:61], v[58:59]
; %bb.605:                              ;   in Loop: Header=BB0_417 Depth=2
	v_bfe_u32 v118, v2, 20, 1
	v_mov_b32_e32 v119, v55
	s_delay_alu instid0(VALU_DEP_1) | instskip(NEXT) | instid1(VALU_DEP_1)
	v_add_nc_u64_e32 v[118:119], v[2:3], v[118:119]
	v_add_nc_u64_e32 v[118:119], -1, v[118:119]
; %bb.606:                              ;   in Loop: Header=BB0_417 Depth=2
	s_or_b32 exec_lo, exec_lo, s20
	v_add_nc_u32_e32 v3, 0xffffff81, v45
	v_lshrrev_b32_e32 v119, 23, v2
	s_mov_b32 s7, exec_lo
	s_delay_alu instid0(VALU_DEP_2) | instskip(NEXT) | instid1(VALU_DEP_1)
	v_cndmask_b32_e64 v3, v3, 0xffffff82, vcc_lo
	v_add3_u32 v119, v46, v3, v119
	v_and_b32_e32 v3, 0xfffff, v118
                                        ; implicit-def: $vgpr118
	s_delay_alu instid0(VALU_DEP_1) | instskip(SKIP_1) | instid1(VALU_DEP_2)
	v_dual_add_nc_u32 v45, 6, v119 :: v_dual_add_nc_u32 v2, v3, v2
	v_mov_b32_e32 v3, v55
	v_cmpx_ne_u32_e32 0, v45
	s_xor_b32 s7, exec_lo, s7
; %bb.607:                              ;   in Loop: Header=BB0_417 Depth=2
	s_delay_alu instid0(VALU_DEP_2) | instskip(SKIP_2) | instid1(VALU_DEP_2)
	v_cmp_lt_u64_e32 vcc_lo, 0xffffff, v[2:3]
	v_add_nc_u32_e32 v118, 7, v119
	v_cndmask_b32_e64 v119, 0, 1, vcc_lo
	v_cndmask_b32_e32 v118, v45, v118, vcc_lo
	s_delay_alu instid0(VALU_DEP_2)
	v_lshrrev_b64 v[2:3], v119, v[2:3]
; %bb.608:                              ;   in Loop: Header=BB0_417 Depth=2
	s_and_not1_saveexec_b32 s7, s7
; %bb.609:                              ;   in Loop: Header=BB0_417 Depth=2
	s_delay_alu instid0(VALU_DEP_1)
	v_bfe_u32 v118, v2, 23, 1
; %bb.610:                              ;   in Loop: Header=BB0_417 Depth=2
	s_or_b32 exec_lo, exec_lo, s7
	s_delay_alu instid0(VALU_DEP_2) | instskip(NEXT) | instid1(VALU_DEP_2)
	v_lshrrev_b64 v[2:3], 20, v[2:3]
	v_cmp_gt_i32_e32 vcc_lo, 16, v118
	v_min_i32_e32 v119, 15, v118
	v_cmp_eq_u32_e64 s7, 0, v118
	s_delay_alu instid0(VALU_DEP_4) | instskip(NEXT) | instid1(VALU_DEP_3)
	v_cndmask_b32_e32 v3, 0, v3, vcc_lo
	v_dual_cndmask_b32 v2, 7, v2 :: v_dual_lshlrev_b32 v119, 3, v119
	s_delay_alu instid0(VALU_DEP_1) | instskip(NEXT) | instid1(VALU_DEP_2)
	v_and_b32_e32 v119, 0xf8, v119
	v_cmp_eq_u64_e32 vcc_lo, 0, v[2:3]
	s_delay_alu instid0(VALU_DEP_2)
	v_and_or_b32 v2, v2, 7, v119
	s_and_b32 s7, s7, vcc_lo
	s_delay_alu instid0(VALU_DEP_1) | instid1(SALU_CYCLE_1)
	v_cndmask_b32_e64 v2, v2, 0, s7
	s_delay_alu instid0(VALU_DEP_1)
	v_or_b32_e32 v45, v2, v5
.LBB0_611:                              ;   in Loop: Header=BB0_417 Depth=2
	s_or_b32 exec_lo, exec_lo, s19
                                        ; implicit-def: $vgpr5
.LBB0_612:                              ;   in Loop: Header=BB0_417 Depth=2
	s_and_not1_saveexec_b32 s7, s18
; %bb.613:                              ;   in Loop: Header=BB0_417 Depth=2
	v_or_b32_e32 v45, 0x7e, v5
; %bb.614:                              ;   in Loop: Header=BB0_417 Depth=2
	s_or_b32 exec_lo, exec_lo, s7
                                        ; implicit-def: $vgpr3
.LBB0_615:                              ;   in Loop: Header=BB0_417 Depth=2
	s_and_not1_saveexec_b32 s7, s17
; %bb.616:                              ;   in Loop: Header=BB0_417 Depth=2
	v_or_b32_e32 v45, 0x7f, v3
; %bb.617:                              ;   in Loop: Header=BB0_417 Depth=2
	s_or_b32 exec_lo, exec_lo, s7
	v_dual_lshrrev_b32 v119, 16, v4 :: v_dual_mov_b32 v5, 0
	v_mov_b32_e32 v118, 0
	s_mov_b32 s7, exec_lo
	s_delay_alu instid0(VALU_DEP_2) | instskip(NEXT) | instid1(VALU_DEP_1)
	v_and_b32_e32 v2, 0xff, v119
	v_cmpx_ne_u16_e32 0, v2
	s_cbranch_execz .LBB0_625
; %bb.618:                              ;   in Loop: Header=BB0_417 Depth=2
	v_bfrev_b32_e32 v118, 1
	s_mov_b32 s17, exec_lo
	v_cmpx_ne_u16_e32 0x80, v2
	s_cbranch_execz .LBB0_624
; %bb.619:                              ;   in Loop: Header=BB0_417 Depth=2
	v_bfe_u32 v46, v4, 16, 7
	v_mov_b32_e32 v118, 0x7f800001
	s_mov_b32 s18, exec_lo
	s_delay_alu instid0(VALU_DEP_2)
	v_cmpx_ne_u32_e32 0x7f, v46
	s_cbranch_execz .LBB0_623
; %bb.620:                              ;   in Loop: Header=BB0_417 Depth=2
	v_dual_mov_b32 v3, v55 :: v_dual_bitop2_b32 v2, 7, v119 bitop3:0x40
	v_lshrrev_b32_e32 v118, 3, v46
	s_mov_b32 s19, exec_lo
	v_cmpx_gt_u32_e32 8, v46
; %bb.621:                              ;   in Loop: Header=BB0_417 Depth=2
	s_delay_alu instid0(VALU_DEP_3) | instskip(NEXT) | instid1(VALU_DEP_1)
	v_clz_i32_u32_e32 v118, v2
	v_min_u32_e32 v118, 32, v118
	s_delay_alu instid0(VALU_DEP_1) | instskip(SKIP_1) | instid1(VALU_DEP_2)
	v_subrev_nc_u32_e32 v46, 28, v118
	v_sub_nc_u32_e32 v118, 29, v118
	v_lshlrev_b64_e32 v[2:3], v46, v[2:3]
	s_delay_alu instid0(VALU_DEP_1)
	v_and_b32_e32 v2, 7, v2
; %bb.622:                              ;   in Loop: Header=BB0_417 Depth=2
	s_or_b32 exec_lo, exec_lo, s19
	s_delay_alu instid0(VALU_DEP_1) | instskip(SKIP_1) | instid1(VALU_DEP_2)
	v_dual_lshlrev_b32 v3, 24, v119 :: v_dual_lshlrev_b32 v2, 20, v2
	v_lshl_add_u32 v118, v118, 23, 0x3c000000
	v_and_b32_e32 v3, 0x80000000, v3
	s_delay_alu instid0(VALU_DEP_1)
	v_or3_b32 v118, v2, v3, v118
.LBB0_623:                              ;   in Loop: Header=BB0_417 Depth=2
	s_or_b32 exec_lo, exec_lo, s18
.LBB0_624:                              ;   in Loop: Header=BB0_417 Depth=2
	s_delay_alu instid0(SALU_CYCLE_1)
	s_or_b32 exec_lo, exec_lo, s17
.LBB0_625:                              ;   in Loop: Header=BB0_417 Depth=2
	s_delay_alu instid0(SALU_CYCLE_1) | instskip(SKIP_2) | instid1(VALU_DEP_1)
	s_or_b32 exec_lo, exec_lo, s7
	v_lshrrev_b32_e32 v2, 16, v54
	s_mov_b32 s7, exec_lo
	v_and_b32_e32 v3, 0xff, v2
	s_delay_alu instid0(VALU_DEP_1)
	v_cmpx_ne_u16_e32 0, v3
	s_cbranch_execz .LBB0_633
; %bb.626:                              ;   in Loop: Header=BB0_417 Depth=2
	v_bfrev_b32_e32 v5, 1
	s_mov_b32 s17, exec_lo
	v_cmpx_ne_u16_e32 0x80, v3
	s_cbranch_execz .LBB0_632
; %bb.627:                              ;   in Loop: Header=BB0_417 Depth=2
	v_bfe_u32 v119, v54, 16, 7
	v_mov_b32_e32 v5, 0x7f800001
	s_mov_b32 s18, exec_lo
	s_delay_alu instid0(VALU_DEP_2)
	v_cmpx_ne_u32_e32 0x7f, v119
	s_cbranch_execz .LBB0_631
; %bb.628:                              ;   in Loop: Header=BB0_417 Depth=2
	v_dual_mov_b32 v3, v55 :: v_dual_bitop2_b32 v2, 7, v2 bitop3:0x40
	v_lshrrev_b32_e32 v5, 3, v119
	s_mov_b32 s19, exec_lo
	v_cmpx_gt_u32_e32 8, v119
; %bb.629:                              ;   in Loop: Header=BB0_417 Depth=2
	s_delay_alu instid0(VALU_DEP_3) | instskip(NEXT) | instid1(VALU_DEP_1)
	v_clz_i32_u32_e32 v5, v2
	v_min_u32_e32 v5, 32, v5
	s_delay_alu instid0(VALU_DEP_1) | instskip(NEXT) | instid1(VALU_DEP_1)
	v_subrev_nc_u32_e32 v119, 28, v5
	v_lshlrev_b64_e32 v[2:3], v119, v[2:3]
	s_delay_alu instid0(VALU_DEP_1)
	v_dual_sub_nc_u32 v5, 29, v5 :: v_dual_bitop2_b32 v2, 7, v2 bitop3:0x40
; %bb.630:                              ;   in Loop: Header=BB0_417 Depth=2
	s_or_b32 exec_lo, exec_lo, s19
	v_lshlrev_b32_e32 v3, 8, v54
	s_delay_alu instid0(VALU_DEP_2) | instskip(NEXT) | instid1(VALU_DEP_3)
	v_lshlrev_b32_e32 v2, 20, v2
	v_lshl_add_u32 v5, v5, 23, 0x3c000000
	s_delay_alu instid0(VALU_DEP_3) | instskip(NEXT) | instid1(VALU_DEP_1)
	v_and_b32_e32 v3, 0x80000000, v3
	v_or3_b32 v5, v2, v3, v5
.LBB0_631:                              ;   in Loop: Header=BB0_417 Depth=2
	s_or_b32 exec_lo, exec_lo, s18
.LBB0_632:                              ;   in Loop: Header=BB0_417 Depth=2
	s_delay_alu instid0(SALU_CYCLE_1)
	s_or_b32 exec_lo, exec_lo, s17
.LBB0_633:                              ;   in Loop: Header=BB0_417 Depth=2
	s_delay_alu instid0(SALU_CYCLE_1) | instskip(NEXT) | instid1(VALU_DEP_1)
	s_or_b32 exec_lo, exec_lo, s7
	v_dual_add_f32 v2, v118, v5 :: v_dual_mov_b32 v119, v55
	s_delay_alu instid0(VALU_DEP_1) | instskip(SKIP_1) | instid1(VALU_DEP_2)
	v_and_b32_e32 v118, 0x7f800000, v2
	v_lshrrev_b32_e32 v3, 24, v2
	v_cmp_ne_u64_e32 vcc_lo, 0x7f800000, v[118:119]
                                        ; implicit-def: $vgpr118
	s_and_saveexec_b32 s7, vcc_lo
	s_delay_alu instid0(SALU_CYCLE_1)
	s_xor_b32 s17, exec_lo, s7
	s_cbranch_execz .LBB0_647
; %bb.634:                              ;   in Loop: Header=BB0_417 Depth=2
	v_and_b32_e32 v118, 0x7fffffff, v2
	v_mov_b32_e32 v119, v55
	v_and_b32_e32 v5, 0x80, v3
	s_delay_alu instid0(VALU_DEP_2) | instskip(SKIP_1) | instid1(SALU_CYCLE_1)
	v_cmp_gt_u64_e32 vcc_lo, 0x43e00001, v[118:119]
                                        ; implicit-def: $vgpr118
	s_and_saveexec_b32 s7, vcc_lo
	s_xor_b32 s18, exec_lo, s7
	s_cbranch_execz .LBB0_644
; %bb.635:                              ;   in Loop: Header=BB0_417 Depth=2
	v_mov_b32_e32 v118, 0
	s_mov_b32 s19, exec_lo
	v_cmpx_ne_u32_e32 0, v2
	s_cbranch_execz .LBB0_643
; %bb.636:                              ;   in Loop: Header=BB0_417 Depth=2
	v_bfe_u32 v46, v2, 23, 8
	v_and_b32_e32 v118, 0x7fffff, v2
	s_mov_b32 s20, exec_lo
	s_delay_alu instid0(VALU_DEP_2) | instskip(SKIP_1) | instid1(VALU_DEP_3)
	v_sub_nc_u32_e32 v3, 0x79, v46
	v_cmp_gt_u32_e32 vcc_lo, 0x7a, v46
	v_or_b32_e32 v119, 0x800000, v118
	s_delay_alu instid0(VALU_DEP_3) | instskip(SKIP_1) | instid1(VALU_DEP_3)
	v_cndmask_b32_e32 v3, 0, v3, vcc_lo
	v_cmp_eq_u32_e32 vcc_lo, 0, v46
	v_cndmask_b32_e32 v118, v119, v118, vcc_lo
	s_delay_alu instid0(VALU_DEP_3) | instskip(NEXT) | instid1(VALU_DEP_1)
	v_cndmask_b32_e64 v47, v3, 0x78, vcc_lo
	v_dual_mov_b32 v119, v55 :: v_dual_add_nc_u32 v2, 20, v47
	v_add_nc_u32_e32 v58, 19, v47
	s_delay_alu instid0(VALU_DEP_2) | instskip(NEXT) | instid1(VALU_DEP_2)
	v_lshlrev_b64_e64 v[2:3], v2, -1
	v_lshlrev_b64_e64 v[58:59], v58, 1
	s_delay_alu instid0(VALU_DEP_2) | instskip(NEXT) | instid1(VALU_DEP_3)
	v_bfi_b32 v61, v3, 0, 0
	v_bfi_b32 v60, v2, 0, v118
	v_lshrrev_b64 v[2:3], v47, v[118:119]
	s_delay_alu instid0(VALU_DEP_1) | instskip(NEXT) | instid1(VALU_DEP_3)
	v_mov_b64_e32 v[118:119], v[2:3]
	v_cmpx_eq_u64_e64 v[60:61], v[58:59]
; %bb.637:                              ;   in Loop: Header=BB0_417 Depth=2
	v_bfe_u32 v118, v2, 20, 1
	v_mov_b32_e32 v119, v55
	s_delay_alu instid0(VALU_DEP_1) | instskip(NEXT) | instid1(VALU_DEP_1)
	v_add_nc_u64_e32 v[118:119], v[2:3], v[118:119]
	v_add_nc_u64_e32 v[118:119], -1, v[118:119]
; %bb.638:                              ;   in Loop: Header=BB0_417 Depth=2
	s_or_b32 exec_lo, exec_lo, s20
	v_add_nc_u32_e32 v3, 0xffffff81, v46
	v_lshrrev_b32_e32 v119, 23, v2
	s_mov_b32 s7, exec_lo
	s_delay_alu instid0(VALU_DEP_2) | instskip(NEXT) | instid1(VALU_DEP_1)
	v_cndmask_b32_e64 v3, v3, 0xffffff82, vcc_lo
	v_add3_u32 v119, v47, v3, v119
	v_and_b32_e32 v3, 0xfffff, v118
                                        ; implicit-def: $vgpr118
	s_delay_alu instid0(VALU_DEP_1) | instskip(SKIP_1) | instid1(VALU_DEP_2)
	v_dual_add_nc_u32 v46, 6, v119 :: v_dual_add_nc_u32 v2, v3, v2
	v_mov_b32_e32 v3, v55
	v_cmpx_ne_u32_e32 0, v46
	s_xor_b32 s7, exec_lo, s7
; %bb.639:                              ;   in Loop: Header=BB0_417 Depth=2
	s_delay_alu instid0(VALU_DEP_2) | instskip(SKIP_2) | instid1(VALU_DEP_2)
	v_cmp_lt_u64_e32 vcc_lo, 0xffffff, v[2:3]
	v_add_nc_u32_e32 v118, 7, v119
	v_cndmask_b32_e64 v119, 0, 1, vcc_lo
	v_cndmask_b32_e32 v118, v46, v118, vcc_lo
	s_delay_alu instid0(VALU_DEP_2)
	v_lshrrev_b64 v[2:3], v119, v[2:3]
; %bb.640:                              ;   in Loop: Header=BB0_417 Depth=2
	s_and_not1_saveexec_b32 s7, s7
; %bb.641:                              ;   in Loop: Header=BB0_417 Depth=2
	s_delay_alu instid0(VALU_DEP_1)
	v_bfe_u32 v118, v2, 23, 1
; %bb.642:                              ;   in Loop: Header=BB0_417 Depth=2
	s_or_b32 exec_lo, exec_lo, s7
	s_delay_alu instid0(VALU_DEP_2) | instskip(NEXT) | instid1(VALU_DEP_2)
	v_lshrrev_b64 v[2:3], 20, v[2:3]
	v_cmp_gt_i32_e32 vcc_lo, 16, v118
	v_min_i32_e32 v119, 15, v118
	v_cmp_eq_u32_e64 s7, 0, v118
	s_delay_alu instid0(VALU_DEP_4) | instskip(NEXT) | instid1(VALU_DEP_3)
	v_cndmask_b32_e32 v3, 0, v3, vcc_lo
	v_dual_cndmask_b32 v2, 7, v2 :: v_dual_lshlrev_b32 v119, 3, v119
	s_delay_alu instid0(VALU_DEP_1) | instskip(NEXT) | instid1(VALU_DEP_2)
	v_and_b32_e32 v119, 0xf8, v119
	v_cmp_eq_u64_e32 vcc_lo, 0, v[2:3]
	s_delay_alu instid0(VALU_DEP_2)
	v_and_or_b32 v2, v2, 7, v119
	s_and_b32 s7, s7, vcc_lo
	s_delay_alu instid0(VALU_DEP_1) | instid1(SALU_CYCLE_1)
	v_cndmask_b32_e64 v2, v2, 0, s7
	s_delay_alu instid0(VALU_DEP_1)
	v_or_b32_e32 v118, v2, v5
.LBB0_643:                              ;   in Loop: Header=BB0_417 Depth=2
	s_or_b32 exec_lo, exec_lo, s19
                                        ; implicit-def: $vgpr5
.LBB0_644:                              ;   in Loop: Header=BB0_417 Depth=2
	s_and_not1_saveexec_b32 s7, s18
; %bb.645:                              ;   in Loop: Header=BB0_417 Depth=2
	v_or_b32_e32 v118, 0x7e, v5
; %bb.646:                              ;   in Loop: Header=BB0_417 Depth=2
	s_or_b32 exec_lo, exec_lo, s7
                                        ; implicit-def: $vgpr3
.LBB0_647:                              ;   in Loop: Header=BB0_417 Depth=2
	s_and_not1_saveexec_b32 s7, s17
; %bb.648:                              ;   in Loop: Header=BB0_417 Depth=2
	v_or_b32_e32 v118, 0x7f, v3
; %bb.649:                              ;   in Loop: Header=BB0_417 Depth=2
	s_or_b32 exec_lo, exec_lo, s7
	v_and_b32_e32 v2, 0xff000000, v4
	v_dual_mov_b32 v3, v55 :: v_dual_mov_b32 v5, 0
	s_delay_alu instid0(VALU_DEP_1)
	v_cmp_ne_u64_e32 vcc_lo, 0, v[2:3]
	v_mov_b32_e32 v2, 0
	s_and_saveexec_b32 s7, vcc_lo
	s_cbranch_execz .LBB0_657
; %bb.650:                              ;   in Loop: Header=BB0_417 Depth=2
	v_lshrrev_b32_e32 v119, 24, v4
	v_bfrev_b32_e32 v2, 1
	s_mov_b32 s17, exec_lo
	s_delay_alu instid0(VALU_DEP_2)
	v_cmpx_ne_u32_e32 0x80, v119
	s_cbranch_execz .LBB0_656
; %bb.651:                              ;   in Loop: Header=BB0_417 Depth=2
	v_bfe_u32 v46, v4, 24, 7
	v_mov_b32_e32 v2, 0x7f800001
	s_mov_b32 s18, exec_lo
	s_delay_alu instid0(VALU_DEP_2)
	v_cmpx_ne_u32_e32 0x7f, v46
	s_cbranch_execz .LBB0_655
; %bb.652:                              ;   in Loop: Header=BB0_417 Depth=2
	v_dual_mov_b32 v3, v55 :: v_dual_bitop2_b32 v2, 7, v119 bitop3:0x40
	v_lshrrev_b32_e32 v4, 3, v46
	s_mov_b32 s19, exec_lo
	v_cmpx_gt_u32_e32 8, v46
; %bb.653:                              ;   in Loop: Header=BB0_417 Depth=2
	s_delay_alu instid0(VALU_DEP_3) | instskip(NEXT) | instid1(VALU_DEP_1)
	v_clz_i32_u32_e32 v4, v2
	v_min_u32_e32 v4, 32, v4
	s_delay_alu instid0(VALU_DEP_1) | instskip(NEXT) | instid1(VALU_DEP_1)
	v_subrev_nc_u32_e32 v46, 28, v4
	v_lshlrev_b64_e32 v[2:3], v46, v[2:3]
	s_delay_alu instid0(VALU_DEP_1)
	v_dual_sub_nc_u32 v4, 29, v4 :: v_dual_bitop2_b32 v2, 7, v2 bitop3:0x40
; %bb.654:                              ;   in Loop: Header=BB0_417 Depth=2
	s_or_b32 exec_lo, exec_lo, s19
	s_delay_alu instid0(VALU_DEP_1) | instskip(NEXT) | instid1(VALU_DEP_2)
	v_dual_lshlrev_b32 v3, 24, v119 :: v_dual_lshlrev_b32 v2, 20, v2
	v_lshl_add_u32 v4, v4, 23, 0x3c000000
	s_delay_alu instid0(VALU_DEP_2) | instskip(NEXT) | instid1(VALU_DEP_1)
	v_and_b32_e32 v3, 0x80000000, v3
	v_or3_b32 v2, v2, v3, v4
.LBB0_655:                              ;   in Loop: Header=BB0_417 Depth=2
	s_or_b32 exec_lo, exec_lo, s18
.LBB0_656:                              ;   in Loop: Header=BB0_417 Depth=2
	s_delay_alu instid0(SALU_CYCLE_1)
	s_or_b32 exec_lo, exec_lo, s17
.LBB0_657:                              ;   in Loop: Header=BB0_417 Depth=2
	s_delay_alu instid0(SALU_CYCLE_1) | instskip(NEXT) | instid1(SALU_CYCLE_1)
	s_or_b32 exec_lo, exec_lo, s7
	s_mov_b32 s7, exec_lo
	v_cmpx_lt_u32_e32 0xffffff, v54
	s_cbranch_execz .LBB0_665
; %bb.658:                              ;   in Loop: Header=BB0_417 Depth=2
	v_lshrrev_b32_e32 v3, 24, v54
	v_bfrev_b32_e32 v5, 1
	s_mov_b32 s17, exec_lo
	s_delay_alu instid0(VALU_DEP_2)
	v_cmpx_ne_u32_e32 0x80, v3
	s_cbranch_execz .LBB0_664
; %bb.659:                              ;   in Loop: Header=BB0_417 Depth=2
	v_bfe_u32 v119, v54, 24, 7
	v_mov_b32_e32 v5, 0x7f800001
	s_mov_b32 s18, exec_lo
	s_delay_alu instid0(VALU_DEP_2)
	v_cmpx_ne_u32_e32 0x7f, v119
	s_cbranch_execz .LBB0_663
; %bb.660:                              ;   in Loop: Header=BB0_417 Depth=2
	v_and_b32_e32 v54, 7, v3
	v_lshrrev_b32_e32 v4, 3, v119
	s_mov_b32 s19, exec_lo
	v_cmpx_gt_u32_e32 8, v119
; %bb.661:                              ;   in Loop: Header=BB0_417 Depth=2
	s_delay_alu instid0(VALU_DEP_3) | instskip(NEXT) | instid1(VALU_DEP_1)
	v_clz_i32_u32_e32 v4, v54
	v_min_u32_e32 v4, 32, v4
	s_delay_alu instid0(VALU_DEP_1) | instskip(NEXT) | instid1(VALU_DEP_1)
	v_subrev_nc_u32_e32 v5, 28, v4
	v_lshlrev_b64_e32 v[46:47], v5, v[54:55]
	s_delay_alu instid0(VALU_DEP_1)
	v_dual_sub_nc_u32 v4, 29, v4 :: v_dual_bitop2_b32 v54, 7, v46 bitop3:0x40
; %bb.662:                              ;   in Loop: Header=BB0_417 Depth=2
	s_or_b32 exec_lo, exec_lo, s19
	s_delay_alu instid0(VALU_DEP_1) | instskip(NEXT) | instid1(VALU_DEP_2)
	v_dual_lshlrev_b32 v3, 24, v3 :: v_dual_lshlrev_b32 v5, 20, v54
	v_lshl_add_u32 v4, v4, 23, 0x3c000000
	s_delay_alu instid0(VALU_DEP_2) | instskip(NEXT) | instid1(VALU_DEP_1)
	v_and_b32_e32 v3, 0x80000000, v3
	v_or3_b32 v5, v5, v3, v4
.LBB0_663:                              ;   in Loop: Header=BB0_417 Depth=2
	s_or_b32 exec_lo, exec_lo, s18
.LBB0_664:                              ;   in Loop: Header=BB0_417 Depth=2
	s_delay_alu instid0(SALU_CYCLE_1)
	s_or_b32 exec_lo, exec_lo, s17
.LBB0_665:                              ;   in Loop: Header=BB0_417 Depth=2
	s_delay_alu instid0(SALU_CYCLE_1) | instskip(NEXT) | instid1(VALU_DEP_1)
	s_or_b32 exec_lo, exec_lo, s7
	v_add_f32_e32 v3, v2, v5
                                        ; implicit-def: $vgpr2
	s_mov_b32 s7, exec_lo
	s_delay_alu instid0(VALU_DEP_1) | instskip(SKIP_1) | instid1(VALU_DEP_2)
	v_and_b32_e32 v54, 0x7f800000, v3
	v_lshrrev_b32_e32 v4, 24, v3
	v_cmpx_ne_u64_e32 0x7f800000, v[54:55]
	s_xor_b32 s17, exec_lo, s7
	s_cbranch_execz .LBB0_679
; %bb.666:                              ;   in Loop: Header=BB0_417 Depth=2
	v_and_b32_e32 v54, 0x7fffffff, v3
	v_and_b32_e32 v119, 0x80, v4
                                        ; implicit-def: $vgpr2
	s_mov_b32 s7, exec_lo
	s_delay_alu instid0(VALU_DEP_2)
	v_cmpx_gt_u64_e32 0x43e00001, v[54:55]
	s_xor_b32 s18, exec_lo, s7
	s_cbranch_execz .LBB0_676
; %bb.667:                              ;   in Loop: Header=BB0_417 Depth=2
	v_mov_b32_e32 v2, 0
	s_mov_b32 s19, exec_lo
	v_cmpx_ne_u32_e32 0, v3
	s_cbranch_execz .LBB0_675
; %bb.668:                              ;   in Loop: Header=BB0_417 Depth=2
	v_bfe_u32 v46, v3, 23, 8
	v_and_b32_e32 v4, 0x7fffff, v3
	s_delay_alu instid0(VALU_DEP_2) | instskip(SKIP_1) | instid1(VALU_DEP_3)
	v_sub_nc_u32_e32 v2, 0x79, v46
	v_cmp_gt_u32_e32 vcc_lo, 0x7a, v46
	v_or_b32_e32 v5, 0x800000, v4
	s_delay_alu instid0(VALU_DEP_3) | instskip(SKIP_1) | instid1(VALU_DEP_2)
	v_cndmask_b32_e32 v2, 0, v2, vcc_lo
	v_cmp_eq_u32_e32 vcc_lo, 0, v46
	v_cndmask_b32_e64 v47, v2, 0x78, vcc_lo
	s_delay_alu instid0(VALU_DEP_1) | instskip(SKIP_1) | instid1(VALU_DEP_2)
	v_dual_cndmask_b32 v54, v5, v4, vcc_lo :: v_dual_add_nc_u32 v2, 20, v47
	v_add_nc_u32_e32 v58, 19, v47
	v_lshlrev_b64_e64 v[2:3], v2, -1
	s_delay_alu instid0(VALU_DEP_2) | instskip(NEXT) | instid1(VALU_DEP_2)
	v_lshlrev_b64_e64 v[4:5], v58, 1
	v_bfi_b32 v59, v3, 0, 0
	s_delay_alu instid0(VALU_DEP_3) | instskip(SKIP_1) | instid1(VALU_DEP_2)
	v_bfi_b32 v58, v2, 0, v54
	v_lshrrev_b64 v[2:3], v47, v[54:55]
	v_cmp_eq_u64_e64 s7, v[58:59], v[4:5]
	s_delay_alu instid0(VALU_DEP_2)
	v_mov_b64_e32 v[4:5], v[2:3]
	s_and_saveexec_b32 s20, s7
; %bb.669:                              ;   in Loop: Header=BB0_417 Depth=2
	v_bfe_u32 v54, v2, 20, 1
	s_delay_alu instid0(VALU_DEP_1) | instskip(NEXT) | instid1(VALU_DEP_1)
	v_add_nc_u64_e32 v[4:5], v[2:3], v[54:55]
	v_add_nc_u64_e32 v[4:5], -1, v[4:5]
; %bb.670:                              ;   in Loop: Header=BB0_417 Depth=2
	s_or_b32 exec_lo, exec_lo, s20
	v_add_nc_u32_e32 v3, 0xffffff81, v46
	v_lshrrev_b32_e32 v5, 23, v2
	s_mov_b32 s7, exec_lo
	s_delay_alu instid0(VALU_DEP_2) | instskip(NEXT) | instid1(VALU_DEP_1)
	v_cndmask_b32_e64 v3, v3, 0xffffff82, vcc_lo
	v_add3_u32 v5, v47, v3, v5
	v_and_b32_e32 v3, 0xfffff, v4
                                        ; implicit-def: $vgpr4
	s_delay_alu instid0(VALU_DEP_1) | instskip(NEXT) | instid1(VALU_DEP_1)
	v_dual_add_nc_u32 v46, 6, v5 :: v_dual_add_nc_u32 v54, v3, v2
                                        ; implicit-def: $vgpr2_vgpr3
	v_cmpx_ne_u32_e32 0, v46
	s_xor_b32 s7, exec_lo, s7
; %bb.671:                              ;   in Loop: Header=BB0_417 Depth=2
	s_delay_alu instid0(VALU_DEP_2) | instskip(SKIP_1) | instid1(VALU_DEP_1)
	v_cmp_lt_u64_e32 vcc_lo, 0xffffff, v[54:55]
	v_add_nc_u32_e32 v2, 7, v5
	v_cndmask_b32_e32 v4, v46, v2, vcc_lo
	v_cndmask_b32_e64 v2, 0, 1, vcc_lo
	s_delay_alu instid0(VALU_DEP_1)
	v_lshrrev_b64 v[2:3], v2, v[54:55]
; %bb.672:                              ;   in Loop: Header=BB0_417 Depth=2
	s_and_not1_saveexec_b32 s7, s7
; %bb.673:                              ;   in Loop: Header=BB0_417 Depth=2
	v_mov_b64_e32 v[2:3], v[54:55]
	v_bfe_u32 v4, v54, 23, 1
; %bb.674:                              ;   in Loop: Header=BB0_417 Depth=2
	s_or_b32 exec_lo, exec_lo, s7
	s_delay_alu instid0(VALU_DEP_2) | instskip(NEXT) | instid1(VALU_DEP_2)
	v_lshrrev_b64 v[2:3], 20, v[2:3]
	v_cmp_gt_i32_e32 vcc_lo, 16, v4
	v_min_i32_e32 v5, 15, v4
	v_cmp_eq_u32_e64 s7, 0, v4
	s_delay_alu instid0(VALU_DEP_2) | instskip(SKIP_1) | instid1(VALU_DEP_2)
	v_dual_cndmask_b32 v3, 0, v3, vcc_lo :: v_dual_lshlrev_b32 v5, 3, v5
	v_cndmask_b32_e32 v2, 7, v2, vcc_lo
	v_and_b32_e32 v5, 0xf8, v5
	s_delay_alu instid0(VALU_DEP_2) | instskip(NEXT) | instid1(VALU_DEP_2)
	v_cmp_eq_u64_e32 vcc_lo, 0, v[2:3]
	v_and_or_b32 v2, v2, 7, v5
	s_and_b32 s7, s7, vcc_lo
	s_delay_alu instid0(VALU_DEP_1) | instid1(SALU_CYCLE_1)
	v_cndmask_b32_e64 v2, v2, 0, s7
	s_delay_alu instid0(VALU_DEP_1)
	v_or_b32_e32 v2, v2, v119
.LBB0_675:                              ;   in Loop: Header=BB0_417 Depth=2
	s_or_b32 exec_lo, exec_lo, s19
                                        ; implicit-def: $vgpr119
.LBB0_676:                              ;   in Loop: Header=BB0_417 Depth=2
	s_and_not1_saveexec_b32 s7, s18
; %bb.677:                              ;   in Loop: Header=BB0_417 Depth=2
	v_or_b32_e32 v2, 0x7e, v119
; %bb.678:                              ;   in Loop: Header=BB0_417 Depth=2
	s_or_b32 exec_lo, exec_lo, s7
                                        ; implicit-def: $vgpr4
.LBB0_679:                              ;   in Loop: Header=BB0_417 Depth=2
	s_and_not1_saveexec_b32 s7, s17
; %bb.680:                              ;   in Loop: Header=BB0_417 Depth=2
	v_or_b32_e32 v2, 0x7f, v4
; %bb.681:                              ;   in Loop: Header=BB0_417 Depth=2
	s_or_b32 exec_lo, exec_lo, s7
	v_dual_lshlrev_b32 v3, 16, v40 :: v_dual_lshlrev_b32 v4, 16, v118
	s_delay_alu instid0(VALU_DEP_2) | instskip(SKIP_1) | instid1(VALU_DEP_3)
	v_dual_lshlrev_b32 v5, 24, v41 :: v_dual_lshlrev_b32 v54, 24, v2
	v_cmp_lt_u32_e32 vcc_lo, 7, v57
	v_lshl_or_b32 v2, v43, 8, v3
	s_delay_alu instid0(VALU_DEP_4) | instskip(SKIP_2) | instid1(VALU_DEP_2)
	v_lshl_or_b32 v3, v45, 8, v4
	s_mov_b32 s7, -1
	s_cmp_lg_u32 vcc_lo, exec_lo
	v_or3_b32 v2, v2, v5, v117
	s_delay_alu instid0(VALU_DEP_2)
	v_or3_b32 v3, v3, v54, v44
	s_cbranch_scc0 .LBB0_697
; %bb.682:                              ;   in Loop: Header=BB0_417 Depth=2
	s_mov_b32 s17, exec_lo
	flat_store_b8 v[18:19], v117
	s_wait_xcnt 0x0
	v_cmpx_ne_u32_e32 1, v57
	s_cbranch_execz .LBB0_684
; %bb.683:                              ;   in Loop: Header=BB0_417 Depth=2
	v_lshrrev_b32_e32 v4, 8, v2
	flat_store_b8 v[18:19], v4 offset:1
.LBB0_684:                              ;   in Loop: Header=BB0_417 Depth=2
	s_wait_xcnt 0x0
	s_or_b32 exec_lo, exec_lo, s17
	s_delay_alu instid0(SALU_CYCLE_1)
	s_mov_b32 s17, exec_lo
	v_cmpx_lt_u32_e32 2, v57
	s_cbranch_execz .LBB0_686
; %bb.685:                              ;   in Loop: Header=BB0_417 Depth=2
	flat_store_d16_hi_b8 v[18:19], v2 offset:2
.LBB0_686:                              ;   in Loop: Header=BB0_417 Depth=2
	s_wait_xcnt 0x0
	s_or_b32 exec_lo, exec_lo, s17
	s_delay_alu instid0(SALU_CYCLE_1)
	s_mov_b32 s17, exec_lo
	v_cmpx_lt_u32_e32 3, v57
	s_cbranch_execz .LBB0_688
; %bb.687:                              ;   in Loop: Header=BB0_417 Depth=2
	v_lshrrev_b32_e32 v4, 24, v2
	flat_store_b8 v[18:19], v4 offset:3
.LBB0_688:                              ;   in Loop: Header=BB0_417 Depth=2
	s_wait_xcnt 0x0
	s_or_b32 exec_lo, exec_lo, s17
	s_delay_alu instid0(SALU_CYCLE_1)
	s_mov_b32 s17, exec_lo
	v_cmpx_lt_u32_e32 4, v57
	s_cbranch_execz .LBB0_690
; %bb.689:                              ;   in Loop: Header=BB0_417 Depth=2
	flat_store_b8 v[18:19], v44 offset:4
.LBB0_690:                              ;   in Loop: Header=BB0_417 Depth=2
	s_wait_xcnt 0x0
	s_or_b32 exec_lo, exec_lo, s17
	s_delay_alu instid0(SALU_CYCLE_1)
	s_mov_b32 s17, exec_lo
	v_cmpx_lt_u32_e32 5, v57
	s_cbranch_execz .LBB0_692
; %bb.691:                              ;   in Loop: Header=BB0_417 Depth=2
	v_lshrrev_b32_e32 v4, 8, v3
	flat_store_b8 v[18:19], v4 offset:5
.LBB0_692:                              ;   in Loop: Header=BB0_417 Depth=2
	s_wait_xcnt 0x0
	s_or_b32 exec_lo, exec_lo, s17
	s_delay_alu instid0(SALU_CYCLE_1)
	s_mov_b32 s17, exec_lo
	v_cmpx_lt_u32_e32 6, v57
	s_cbranch_execz .LBB0_694
; %bb.693:                              ;   in Loop: Header=BB0_417 Depth=2
	flat_store_d16_hi_b8 v[18:19], v3 offset:6
.LBB0_694:                              ;   in Loop: Header=BB0_417 Depth=2
	s_wait_xcnt 0x0
	s_or_b32 exec_lo, exec_lo, s17
	s_and_saveexec_b32 s7, vcc_lo
	s_cbranch_execz .LBB0_696
; %bb.695:                              ;   in Loop: Header=BB0_417 Depth=2
	v_lshrrev_b32_e32 v4, 24, v3
	flat_store_b8 v[18:19], v4 offset:7
.LBB0_696:                              ;   in Loop: Header=BB0_417 Depth=2
	s_wait_xcnt 0x0
	s_or_b32 exec_lo, exec_lo, s7
	s_mov_b32 s7, 0
.LBB0_697:                              ;   in Loop: Header=BB0_417 Depth=2
	s_delay_alu instid0(SALU_CYCLE_1)
	s_and_b32 vcc_lo, exec_lo, s7
	s_cbranch_vccz .LBB0_416
; %bb.698:                              ;   in Loop: Header=BB0_417 Depth=2
	global_store_b64 v[18:19], v[2:3], off
	s_branch .LBB0_416
.LBB0_699:                              ;   in Loop: Header=BB0_36 Depth=1
	s_or_b32 exec_lo, exec_lo, s16
	s_delay_alu instid0(SALU_CYCLE_1)
	s_or_b32 exec_lo, exec_lo, s8
	s_and_saveexec_b32 s7, s3
	s_cbranch_execz .LBB0_414
.LBB0_700:                              ;   in Loop: Header=BB0_36 Depth=1
	s_and_saveexec_b32 s8, s4
	s_delay_alu instid0(SALU_CYCLE_1)
	s_xor_b32 s8, exec_lo, s8
	s_cbranch_execz .LBB0_715
; %bb.701:                              ;   in Loop: Header=BB0_36 Depth=1
	s_and_saveexec_b32 s16, s5
	s_cbranch_execz .LBB0_714
; %bb.702:                              ;   in Loop: Header=BB0_36 Depth=1
	s_mov_b32 s18, exec_lo
	s_mov_b32 s17, exec_lo
	v_mbcnt_lo_u32_b32 v2, s18, 0
	global_wb scope:SCOPE_DEV
	s_wait_storecnt 0x0
	s_wait_loadcnt_dscnt 0x0
	global_inv scope:SCOPE_DEV
	v_cmpx_eq_u32_e32 0, v2
	s_cbranch_execz .LBB0_704
; %bb.703:                              ;   in Loop: Header=BB0_36 Depth=1
	s_bcnt1_i32_b32 s18, s18
	s_delay_alu instid0(SALU_CYCLE_1)
	v_mov_b32_e32 v54, s18
	s_wait_loadcnt 0x0
	ds_add_u64 v0, v[54:55]
	s_trap 2
.LBB0_704:                              ;   in Loop: Header=BB0_36 Depth=1
	s_or_b32 exec_lo, exec_lo, s17
	s_trap 2
	ds_load_b64 v[2:3], v0
	s_wait_dscnt 0x0
	v_add_nc_u64_e32 v[52:53], v[52:53], v[84:85]
	s_mov_b32 s17, exec_lo
	s_delay_alu instid0(VALU_DEP_1)
	v_cmpx_lt_u64_e64 v[2:3], v[52:53]
	s_cbranch_execz .LBB0_713
; %bb.705:                              ;   in Loop: Header=BB0_36 Depth=1
	s_mov_b32 s18, 0
	s_mov_b32 s21, 0
                                        ; implicit-def: $sgpr19
                                        ; implicit-def: $sgpr20
	s_branch .LBB0_707
.LBB0_706:                              ;   in Loop: Header=BB0_707 Depth=2
	s_or_b32 exec_lo, exec_lo, s23
	s_delay_alu instid0(SALU_CYCLE_1) | instskip(NEXT) | instid1(SALU_CYCLE_1)
	s_and_b32 s22, exec_lo, s24
	s_or_b32 s18, s22, s18
	s_and_not1_b32 s19, s19, exec_lo
	s_and_b32 s22, s20, exec_lo
	s_delay_alu instid0(SALU_CYCLE_1)
	s_or_b32 s19, s19, s22
	s_and_not1_b32 exec_lo, exec_lo, s18
	s_cbranch_execz .LBB0_711
.LBB0_707:                              ;   Parent Loop BB0_36 Depth=1
                                        ; =>  This Inner Loop Header: Depth=2
	s_add_co_i32 s21, s21, 1
	s_delay_alu instid0(SALU_CYCLE_1) | instskip(SKIP_1) | instid1(SALU_CYCLE_1)
	s_cmp_lg_u32 s21, 0x2710
	s_cselect_b32 s22, -1, 0
	s_and_b32 vcc_lo, exec_lo, s22
	s_cbranch_vccz .LBB0_709
; %bb.708:                              ;   in Loop: Header=BB0_707 Depth=2
	s_mov_b32 s24, -1
	s_or_b32 s20, s20, exec_lo
	s_and_saveexec_b32 s23, s22
	s_cbranch_execz .LBB0_706
	s_branch .LBB0_710
.LBB0_709:                              ;   in Loop: Header=BB0_707 Depth=2
	s_trap 2
	ds_load_b64 v[2:3], v0
	s_and_not1_b32 s22, s22, exec_lo
	s_mov_b32 s21, 0
	s_wait_loadcnt_dscnt 0x0
	flat_load_b32 v2, v[2:3] scope:SCOPE_SYS
	s_wait_loadcnt_dscnt 0x0
	global_inv scope:SCOPE_SYS
	v_cmp_eq_u32_e32 vcc_lo, 0, v2
	s_and_b32 s23, vcc_lo, exec_lo
	s_delay_alu instid0(SALU_CYCLE_1)
	s_or_b32 s22, s22, s23
	s_mov_b32 s24, -1
	s_or_b32 s20, s20, exec_lo
	s_and_saveexec_b32 s23, s22
	s_cbranch_execz .LBB0_706
.LBB0_710:                              ;   in Loop: Header=BB0_707 Depth=2
	s_sleep 1
	s_trap 2
	ds_load_b64 v[2:3], v0
	s_wait_dscnt 0x0
	s_and_not1_b32 s20, s20, exec_lo
	v_cmp_ge_u64_e32 vcc_lo, v[2:3], v[52:53]
	s_or_not1_b32 s24, vcc_lo, exec_lo
	s_branch .LBB0_706
.LBB0_711:                              ;   in Loop: Header=BB0_36 Depth=1
	s_or_b32 exec_lo, exec_lo, s18
	s_and_saveexec_b32 s18, s19
	s_delay_alu instid0(SALU_CYCLE_1)
	s_xor_b32 s18, exec_lo, s18
	s_cbranch_execz .LBB0_713
; %bb.712:                              ;   in Loop: Header=BB0_36 Depth=1
	ds_store_b32 v0, v1
	s_trap 2
.LBB0_713:                              ;   in Loop: Header=BB0_36 Depth=1
	s_or_b32 exec_lo, exec_lo, s17
	;;#ASMSTART
	s_wakeup
	;;#ASMEND
.LBB0_714:                              ;   in Loop: Header=BB0_36 Depth=1
	s_or_b32 exec_lo, exec_lo, s16
.LBB0_715:                              ;   in Loop: Header=BB0_36 Depth=1
	s_and_not1_saveexec_b32 s8, s8
	s_cbranch_execz .LBB0_717
; %bb.716:                              ;   in Loop: Header=BB0_36 Depth=1
	global_wb scope:SCOPE_DEV
	s_wait_storecnt 0x0
	s_wait_loadcnt_dscnt 0x0
	global_inv scope:SCOPE_DEV
	s_barrier_signal -1
	s_barrier_wait -1
.LBB0_717:                              ;   in Loop: Header=BB0_36 Depth=1
	s_or_b32 exec_lo, exec_lo, s8
	s_delay_alu instid0(SALU_CYCLE_1)
	s_or_b32 exec_lo, exec_lo, s7
	s_and_saveexec_b32 s7, s6
	s_cbranch_execz .LBB0_35
.LBB0_718:                              ;   in Loop: Header=BB0_36 Depth=1
	v_add_nc_u64_e32 v[38:39], 1, v[38:39]
	global_wb scope:SCOPE_SYS
	s_wait_storecnt 0x0
	s_wait_loadcnt_dscnt 0x0
	flat_store_b64 v[48:49], v[38:39] scope:SCOPE_SYS
	s_branch .LBB0_35
.LBB0_719:
	s_or_b32 exec_lo, exec_lo, s14
	s_delay_alu instid0(SALU_CYCLE_1)
	s_or_b32 exec_lo, exec_lo, s12
	s_and_saveexec_b32 s1, s9
	s_cbranch_execz .LBB0_20
.LBB0_720:
	s_wait_dscnt 0x0
	flat_store_b64 v[28:29], v[38:39] offset:104
	s_wait_xcnt 0x0
	s_or_b32 exec_lo, exec_lo, s1
	s_and_saveexec_b32 s1, s0
	s_cbranch_execnz .LBB0_21
	s_branch .LBB0_22
.LBB0_721:
	s_or_b32 exec_lo, exec_lo, s4
	s_and_saveexec_b32 s4, s5
	s_delay_alu instid0(SALU_CYCLE_1)
	s_xor_b32 s4, exec_lo, s4
	s_cbranch_execz .LBB0_723
; %bb.722:
	v_mov_b32_e32 v0, 1
	ds_store_b32 v0, v0
	s_trap 2
.LBB0_723:
	s_or_b32 exec_lo, exec_lo, s3
	;;#ASMSTART
	s_wakeup
	;;#ASMEND
.LBB0_724:
	s_or_b32 exec_lo, exec_lo, s2
.LBB0_725:
	s_and_not1_saveexec_b32 s1, s1
	s_cbranch_execz .LBB0_727
; %bb.726:
	global_wb scope:SCOPE_DEV
	s_wait_storecnt 0x0
	s_wait_loadcnt_dscnt 0x0
	global_inv scope:SCOPE_DEV
	s_barrier_signal -1
	s_barrier_wait -1
.LBB0_727:
	s_or_b32 exec_lo, exec_lo, s0
	s_clause 0x17
	scratch_load_b32 v79, off, s32
	scratch_load_b32 v78, off, s32 offset:4
	scratch_load_b32 v77, off, s32 offset:8
	;; [unrolled: 1-line block ×23, first 2 shown]
	s_wait_loadcnt_dscnt 0x0
	s_set_pc_i64 s[30:31]
.Lfunc_end0:
	.size	_ZN12_GLOBAL__N_17runRingI14__hip_fp8_e4m37FuncSumIS1_E7ProtoLLLi0ELi1ELi0EEEviiP15ncclDevWorkColl, .Lfunc_end0-_ZN12_GLOBAL__N_17runRingI14__hip_fp8_e4m37FuncSumIS1_E7ProtoLLLi0ELi1ELi0EEEviiP15ncclDevWorkColl
                                        ; -- End function
	.set .L_ZN12_GLOBAL__N_17runRingI14__hip_fp8_e4m37FuncSumIS1_E7ProtoLLLi0ELi1ELi0EEEviiP15ncclDevWorkColl.num_vgpr, 120
	.set .L_ZN12_GLOBAL__N_17runRingI14__hip_fp8_e4m37FuncSumIS1_E7ProtoLLLi0ELi1ELi0EEEviiP15ncclDevWorkColl.num_agpr, 0
	.set .L_ZN12_GLOBAL__N_17runRingI14__hip_fp8_e4m37FuncSumIS1_E7ProtoLLLi0ELi1ELi0EEEviiP15ncclDevWorkColl.numbered_sgpr, 33
	.set .L_ZN12_GLOBAL__N_17runRingI14__hip_fp8_e4m37FuncSumIS1_E7ProtoLLLi0ELi1ELi0EEEviiP15ncclDevWorkColl.num_named_barrier, 0
	.set .L_ZN12_GLOBAL__N_17runRingI14__hip_fp8_e4m37FuncSumIS1_E7ProtoLLLi0ELi1ELi0EEEviiP15ncclDevWorkColl.private_seg_size, 100
	.set .L_ZN12_GLOBAL__N_17runRingI14__hip_fp8_e4m37FuncSumIS1_E7ProtoLLLi0ELi1ELi0EEEviiP15ncclDevWorkColl.uses_vcc, 1
	.set .L_ZN12_GLOBAL__N_17runRingI14__hip_fp8_e4m37FuncSumIS1_E7ProtoLLLi0ELi1ELi0EEEviiP15ncclDevWorkColl.uses_flat_scratch, 1
	.set .L_ZN12_GLOBAL__N_17runRingI14__hip_fp8_e4m37FuncSumIS1_E7ProtoLLLi0ELi1ELi0EEEviiP15ncclDevWorkColl.has_dyn_sized_stack, 0
	.set .L_ZN12_GLOBAL__N_17runRingI14__hip_fp8_e4m37FuncSumIS1_E7ProtoLLLi0ELi1ELi0EEEviiP15ncclDevWorkColl.has_recursion, 0
	.set .L_ZN12_GLOBAL__N_17runRingI14__hip_fp8_e4m37FuncSumIS1_E7ProtoLLLi0ELi1ELi0EEEviiP15ncclDevWorkColl.has_indirect_call, 0
	.section	.AMDGPU.csdata,"",@progbits
; Function info:
; codeLenInByte = 24276
; TotalNumSgprs: 35
; NumVgprs: 120
; ScratchSize: 100
; MemoryBound: 0
	.text
	.p2align	2                               ; -- Begin function _Z50ncclDevFunc_ReduceScatter_RING_LL_Sum_f8e4m3_0_0_1v
	.type	_Z50ncclDevFunc_ReduceScatter_RING_LL_Sum_f8e4m3_0_0_1v,@function
_Z50ncclDevFunc_ReduceScatter_RING_LL_Sum_f8e4m3_0_0_1v: ; @_Z50ncclDevFunc_ReduceScatter_RING_LL_Sum_f8e4m3_0_0_1v
; %bb.0:
	s_wait_loadcnt_dscnt 0x0
	s_wait_kmcnt 0x0
	s_mov_b32 s46, s33
	s_mov_b32 s33, s32
	s_or_saveexec_b32 s0, -1
	scratch_store_b32 off, v41, s33 offset:4 ; 4-byte Folded Spill
	s_wait_xcnt 0x0
	s_mov_b32 exec_lo, s0
	s_add_co_i32 s32, s32, 16
	scratch_store_b32 off, v40, s33         ; 4-byte Folded Spill
	v_writelane_b32 v41, s30, 0
	v_writelane_b32 v41, s31, 1
	s_trap 2
	ds_load_b32 v0, v0
	s_wait_dscnt 0x0
	v_cmp_gt_i32_e32 vcc_lo, 1, v0
	s_cbranch_vccnz .LBB1_8
; %bb.1:
	s_wait_xcnt 0x0
	v_and_b32_e32 v40, 0x3ff, v31
	s_mov_b32 s29, s12
	s_mov_b64 s[40:41], s[8:9]
	s_mov_b32 s44, 0
	s_get_pc_i64 s[42:43]
	s_add_nc_u64 s[42:43], s[42:43], _ZN12_GLOBAL__N_17runRingI14__hip_fp8_e4m37FuncSumIS1_E7ProtoLLLi0ELi1ELi0EEEviiP15ncclDevWorkColl@rel64+4
	s_branch .LBB1_3
.LBB1_2:                                ;   in Loop: Header=BB1_3 Depth=1
	s_or_b32 exec_lo, exec_lo, s45
	s_trap 2
	ds_load_b32 v0, v0
	s_add_co_i32 s44, s44, 1
	s_wait_dscnt 0x0
	v_cmp_lt_i32_e32 vcc_lo, s44, v0
	s_cbranch_vccz .LBB1_8
.LBB1_3:                                ; =>This Inner Loop Header: Depth=1
	s_trap 2
	ds_load_b32 v0, v0
	s_cmp_eq_u32 s44, 0
	s_cbranch_scc1 .LBB1_6
; %bb.4:                                ;   in Loop: Header=BB1_3 Depth=1
	s_trap 2
	s_wait_dscnt 0x0
	ds_load_b32 v1, v0
	s_wait_dscnt 0x0
	v_xor_b32_e32 v1, v1, v0
	s_delay_alu instid0(VALU_DEP_1) | instskip(NEXT) | instid1(VALU_DEP_1)
	v_and_b32_e32 v1, 0xff0000, v1
	v_cmp_eq_u32_e32 vcc_lo, 0, v1
	s_cbranch_vccnz .LBB1_6
; %bb.5:                                ;   in Loop: Header=BB1_3 Depth=1
	s_wait_storecnt 0x0
	s_barrier_signal -1
	s_barrier_wait -1
	ds_load_b32 v0, v0
.LBB1_6:                                ;   in Loop: Header=BB1_3 Depth=1
	s_wait_dscnt 0x0
	v_lshrrev_b32_e32 v0, 11, v0
	s_mov_b32 s45, exec_lo
	s_delay_alu instid0(VALU_DEP_1) | instskip(NEXT) | instid1(VALU_DEP_1)
	v_and_b32_e32 v1, 0x1fe0, v0
	v_cmpx_lt_u32_e64 v40, v1
	s_cbranch_execz .LBB1_2
; %bb.7:                                ;   in Loop: Header=BB1_3 Depth=1
	s_mov_b64 s[0:1], src_shared_base
	s_delay_alu instid0(SALU_CYCLE_1)
	v_dual_mov_b32 v0, v40 :: v_dual_mov_b32 v3, s1
	s_mov_b64 s[8:9], s[40:41]
	s_mov_b32 s12, s29
	s_swap_pc_i64 s[30:31], s[42:43]
	s_branch .LBB1_2
.LBB1_8:
	scratch_load_b32 v40, off, s33          ; 4-byte Folded Reload
	v_readlane_b32 s30, v41, 0
	v_readlane_b32 s31, v41, 1
	s_mov_b32 s32, s33
	s_wait_xcnt 0x0
	s_or_saveexec_b32 s0, -1
	scratch_load_b32 v41, off, s33 offset:4 ; 4-byte Folded Reload
	s_wait_xcnt 0x0
	s_mov_b32 exec_lo, s0
	s_mov_b32 s33, s46
	s_wait_loadcnt 0x0
	s_set_pc_i64 s[30:31]
.Lfunc_end1:
	.size	_Z50ncclDevFunc_ReduceScatter_RING_LL_Sum_f8e4m3_0_0_1v, .Lfunc_end1-_Z50ncclDevFunc_ReduceScatter_RING_LL_Sum_f8e4m3_0_0_1v
                                        ; -- End function
	.set .L_Z50ncclDevFunc_ReduceScatter_RING_LL_Sum_f8e4m3_0_0_1v.num_vgpr, max(42, .L_ZN12_GLOBAL__N_17runRingI14__hip_fp8_e4m37FuncSumIS1_E7ProtoLLLi0ELi1ELi0EEEviiP15ncclDevWorkColl.num_vgpr)
	.set .L_Z50ncclDevFunc_ReduceScatter_RING_LL_Sum_f8e4m3_0_0_1v.num_agpr, max(0, .L_ZN12_GLOBAL__N_17runRingI14__hip_fp8_e4m37FuncSumIS1_E7ProtoLLLi0ELi1ELi0EEEviiP15ncclDevWorkColl.num_agpr)
	.set .L_Z50ncclDevFunc_ReduceScatter_RING_LL_Sum_f8e4m3_0_0_1v.numbered_sgpr, max(47, .L_ZN12_GLOBAL__N_17runRingI14__hip_fp8_e4m37FuncSumIS1_E7ProtoLLLi0ELi1ELi0EEEviiP15ncclDevWorkColl.numbered_sgpr)
	.set .L_Z50ncclDevFunc_ReduceScatter_RING_LL_Sum_f8e4m3_0_0_1v.num_named_barrier, max(0, .L_ZN12_GLOBAL__N_17runRingI14__hip_fp8_e4m37FuncSumIS1_E7ProtoLLLi0ELi1ELi0EEEviiP15ncclDevWorkColl.num_named_barrier)
	.set .L_Z50ncclDevFunc_ReduceScatter_RING_LL_Sum_f8e4m3_0_0_1v.private_seg_size, 16+max(.L_ZN12_GLOBAL__N_17runRingI14__hip_fp8_e4m37FuncSumIS1_E7ProtoLLLi0ELi1ELi0EEEviiP15ncclDevWorkColl.private_seg_size)
	.set .L_Z50ncclDevFunc_ReduceScatter_RING_LL_Sum_f8e4m3_0_0_1v.uses_vcc, or(1, .L_ZN12_GLOBAL__N_17runRingI14__hip_fp8_e4m37FuncSumIS1_E7ProtoLLLi0ELi1ELi0EEEviiP15ncclDevWorkColl.uses_vcc)
	.set .L_Z50ncclDevFunc_ReduceScatter_RING_LL_Sum_f8e4m3_0_0_1v.uses_flat_scratch, or(0, .L_ZN12_GLOBAL__N_17runRingI14__hip_fp8_e4m37FuncSumIS1_E7ProtoLLLi0ELi1ELi0EEEviiP15ncclDevWorkColl.uses_flat_scratch)
	.set .L_Z50ncclDevFunc_ReduceScatter_RING_LL_Sum_f8e4m3_0_0_1v.has_dyn_sized_stack, or(0, .L_ZN12_GLOBAL__N_17runRingI14__hip_fp8_e4m37FuncSumIS1_E7ProtoLLLi0ELi1ELi0EEEviiP15ncclDevWorkColl.has_dyn_sized_stack)
	.set .L_Z50ncclDevFunc_ReduceScatter_RING_LL_Sum_f8e4m3_0_0_1v.has_recursion, or(1, .L_ZN12_GLOBAL__N_17runRingI14__hip_fp8_e4m37FuncSumIS1_E7ProtoLLLi0ELi1ELi0EEEviiP15ncclDevWorkColl.has_recursion)
	.set .L_Z50ncclDevFunc_ReduceScatter_RING_LL_Sum_f8e4m3_0_0_1v.has_indirect_call, or(0, .L_ZN12_GLOBAL__N_17runRingI14__hip_fp8_e4m37FuncSumIS1_E7ProtoLLLi0ELi1ELi0EEEviiP15ncclDevWorkColl.has_indirect_call)
	.section	.AMDGPU.csdata,"",@progbits
; Function info:
; codeLenInByte = 396
; TotalNumSgprs: 49
; NumVgprs: 120
; ScratchSize: 116
; MemoryBound: 0
	.text
	.p2align	2                               ; -- Begin function _ZN12_GLOBAL__N_17runRingI14__hip_fp8_e4m37FuncSumIS1_E7ProtoLLLi0ELi2ELi0EEEviiP15ncclDevWorkColl
	.type	_ZN12_GLOBAL__N_17runRingI14__hip_fp8_e4m37FuncSumIS1_E7ProtoLLLi0ELi2ELi0EEEviiP15ncclDevWorkColl,@function
_ZN12_GLOBAL__N_17runRingI14__hip_fp8_e4m37FuncSumIS1_E7ProtoLLLi0ELi2ELi0EEEviiP15ncclDevWorkColl: ; @_ZN12_GLOBAL__N_17runRingI14__hip_fp8_e4m37FuncSumIS1_E7ProtoLLLi0ELi2ELi0EEEviiP15ncclDevWorkColl
; %bb.0:
	s_wait_loadcnt_dscnt 0x0
	s_wait_kmcnt 0x0
	s_clause 0x17
	scratch_store_b32 off, v40, s32 offset:92
	; meta instruction
	scratch_store_b32 off, v41, s32 offset:88
	; meta instruction
	;; [unrolled: 2-line block ×23, first 2 shown]
	scratch_store_b32 off, v79, s32
	s_trap 2
	s_clause 0x2
	flat_load_b32 v12, v[2:3]
	flat_load_b128 v[4:7], v[2:3] offset:72
	flat_load_b64 v[68:69], v[2:3] offset:88
	v_mov_b32_e32 v20, v1
	ds_load_b32 v8, v0
	ds_load_b64 v[22:23], v0
	s_mov_b32 s0, exec_lo
                                        ; implicit-def: $vgpr54_vgpr55
                                        ; implicit-def: $vgpr24_vgpr25
	s_wait_dscnt 0x1
	v_readfirstlane_b32 s10, v8
	s_wait_loadcnt 0x2
	v_bfe_u32 v9, v12, 8, 8
	v_bitop3_b32 v1, v12, 0xff, v12 bitop3:0x3f
	s_delay_alu instid0(VALU_DEP_1) | instskip(NEXT) | instid1(VALU_DEP_1)
	v_add_nc_u32_e32 v10, v9, v1
	v_ashrrev_i32_e32 v11, 31, v10
	s_wait_loadcnt 0x1
	s_delay_alu instid0(VALU_DEP_1) | instskip(SKIP_2) | instid1(VALU_DEP_1)
	v_mul_u64_e32 v[18:19], v[6:7], v[10:11]
	v_and_b32_e32 v10, 0xff, v12
	s_wait_xcnt 0x0
	v_cmpx_ne_u32_e64 v8, v10
	s_xor_b32 s0, exec_lo, s0
	s_cbranch_execz .LBB2_6
; %bb.1:
	s_mov_b32 s1, exec_lo
                                        ; implicit-def: $vgpr54_vgpr55
                                        ; implicit-def: $vgpr24_vgpr25
	v_cmpx_ne_u32_e64 v8, v9
	s_xor_b32 s1, exec_lo, s1
	s_cbranch_execz .LBB2_3
; %bb.2:
	flat_load_b64 v[10:11], v[2:3] offset:96
	v_add_nc_u32_e32 v1, v8, v1
	s_delay_alu instid0(VALU_DEP_1) | instskip(NEXT) | instid1(VALU_DEP_1)
	v_mad_nc_u64_u32 v[24:25], v6, v1, v[4:5]
	v_mad_u32 v8, v7, v1, v25
	v_ashrrev_i32_e32 v1, 31, v1
	s_delay_alu instid0(VALU_DEP_1)
	v_mad_u32 v25, v6, v1, v8
	s_wait_loadcnt_dscnt 0x0
	v_lshrrev_b64 v[54:55], 17, v[10:11]
.LBB2_3:
	s_wait_xcnt 0x0
	s_and_not1_saveexec_b32 s1, s1
	s_cbranch_execz .LBB2_5
; %bb.4:
	flat_load_b32 v1, v[2:3] offset:100
	v_add_nc_u64_e32 v[24:25], v[18:19], v[4:5]
	s_wait_loadcnt 0x1
	v_mov_b64_e32 v[6:7], v[68:69]
	s_wait_loadcnt_dscnt 0x0
	v_lshrrev_b32_e32 v54, 6, v1
.LBB2_5:
	s_wait_xcnt 0x0
	s_or_b32 exec_lo, exec_lo, s1
.LBB2_6:
	s_and_not1_saveexec_b32 s0, s0
	s_cbranch_execz .LBB2_8
; %bb.7:
	flat_load_b64 v[6:7], v[2:3] offset:96
	v_mov_b64_e32 v[24:25], 0
	s_wait_loadcnt_dscnt 0x0
	v_lshlrev_b64_e32 v[54:55], 4, v[6:7]
	v_mov_b64_e32 v[6:7], v[4:5]
.LBB2_8:
	s_wait_xcnt 0x0
	s_or_b32 exec_lo, exec_lo, s0
	s_load_b32 s0, s[8:9], 0x0
	s_clause 0x1
	flat_load_u16 v13, v[2:3] offset:8
	flat_load_b32 v12, v[2:3] offset:4
	s_bfe_u32 s1, ttmp6, 0x4000c
	s_and_b32 s2, ttmp6, 15
	s_add_co_i32 s1, s1, 1
	s_getreg_b32 s3, hwreg(HW_REG_IB_STS2, 6, 4)
	s_mul_i32 s1, ttmp9, s1
	v_mov_b32_e32 v1, 0
	s_add_co_i32 s2, s2, s1
	s_cmp_eq_u32 s3, 0
	s_mov_b32 s1, 0
	s_cselect_b32 s2, ttmp9, s2
	v_mov_b64_e32 v[26:27], 0
	s_wait_kmcnt 0x0
	s_cmp_lt_u32 s2, s0
	s_cselect_b32 s0, 12, 18
	s_delay_alu instid0(SALU_CYCLE_1)
	s_add_nc_u64 s[2:3], s[8:9], s[0:1]
	flat_load_b128 v[8:11], v[2:3] offset:16
	global_load_u16 v21, v1, s[2:3]
	s_wait_xcnt 0x0
	v_ashrrev_i32_e32 v1, 31, v0
	s_trap 2
	ds_load_b32 v2, v0
	v_lshrrev_b32_e32 v3, 27, v1
	s_delay_alu instid0(VALU_DEP_1) | instskip(NEXT) | instid1(VALU_DEP_1)
	v_add_nc_u32_e32 v3, v0, v3
	v_and_b32_e32 v3, 0xffffffe0, v3
	s_wait_dscnt 0x0
	v_cmp_gt_i32_e32 vcc_lo, 0, v2
	v_readfirstlane_b32 s2, v2
	s_and_b32 vcc_lo, exec_lo, vcc_lo
	s_wait_loadcnt 0x2
	v_lshrrev_b64 v[14:15], 31, v[12:13]
	v_sub_nc_u32_e32 v12, v0, v3
	s_delay_alu instid0(VALU_DEP_1) | instskip(NEXT) | instid1(VALU_DEP_3)
	v_cmp_eq_u32_e64 s0, 0, v12
	v_and_b32_e32 v3, 3, v14
	s_delay_alu instid0(VALU_DEP_1)
	v_and_b32_e32 v13, 0xffff, v3
	s_cbranch_vccnz .LBB2_10
; %bb.9:
	s_trap 2
	ds_load_b64 v[14:15], v0
	s_mov_b32 s1, 1
	s_wait_dscnt 0x0
	v_readfirstlane_b32 s4, v14
	v_readfirstlane_b32 s5, v15
	flat_load_b64 v[2:3], v2, s[4:5] scale_offset
	s_wait_loadcnt_dscnt 0x0
	v_mad_nc_u64_u32 v[2:3], 0xa8, v13, v[2:3]
	s_clause 0x1
	flat_load_b64 v[32:33], v[2:3] offset:504
	flat_load_b64 v[34:35], v[2:3] offset:608
	v_add_nc_u64_e32 v[28:29], 0x1f8, v[2:3]
	s_wait_xcnt 0x0
	s_delay_alu instid0(VALU_DEP_1)
	v_dual_cndmask_b32 v3, 0, v29, s0 :: v_dual_cndmask_b32 v2, 0, v28, s0
	s_branch .LBB2_11
.LBB2_10:
	v_mov_b64_e32 v[28:29], 0
	v_mov_b64_e32 v[2:3], 0
                                        ; implicit-def: $vgpr34_vgpr35
                                        ; implicit-def: $vgpr32_vgpr33
.LBB2_11:
	s_trap 2
	ds_load_b32 v14, v0
	s_wait_dscnt 0x0
	v_cmp_gt_i32_e32 vcc_lo, 0, v14
	s_cbranch_vccnz .LBB2_13
; %bb.12:
	s_trap 2
	ds_load_b64 v[16:17], v0
	v_cmp_eq_u32_e32 vcc_lo, 0, v12
	s_wait_dscnt 0x0
	v_readfirstlane_b32 s4, v16
	v_readfirstlane_b32 s5, v17
	flat_load_b64 v[14:15], v14, s[4:5] scale_offset
	s_wait_loadcnt_dscnt 0x0
	v_mad_nc_u64_u32 v[26:27], 0xa8, v13, v[14:15]
	s_clause 0x1
	flat_load_b64 v[36:37], v[26:27]
	flat_load_b64 v[16:17], v[26:27] offset:104
	v_dual_cndmask_b32 v53, 0, v27 :: v_dual_cndmask_b32 v52, 0, v26
	s_branch .LBB2_14
.LBB2_13:
	v_mov_b64_e32 v[52:53], 0
                                        ; implicit-def: $vgpr16_vgpr17
                                        ; implicit-def: $vgpr36_vgpr37
.LBB2_14:
	s_wait_xcnt 0x2
	v_subrev_nc_u32_e32 v14, 32, v20
	v_cmp_gt_i32_e32 vcc_lo, s1, v12
	v_mov_b64_e32 v[12:13], 0
	v_mov_b64_e32 v[48:49], 0
                                        ; implicit-def: $vgpr38_vgpr39
	s_delay_alu instid0(VALU_DEP_4)
	v_cmp_ge_i32_e64 s0, v0, v14
	s_and_b32 s9, s0, vcc_lo
	s_wait_xcnt 0x0
	s_and_saveexec_b32 s0, s9
	s_cbranch_execz .LBB2_16
; %bb.15:
	s_clause 0x1
	flat_load_b64 v[48:49], v[2:3] offset:56
	flat_load_b64 v[38:39], v[2:3] offset:104
.LBB2_16:
	s_wait_xcnt 0x0
	s_or_b32 exec_lo, exec_lo, s0
	v_mov_b64_e32 v[50:51], 0
	v_cmp_gt_i32_e64 s0, s1, v0
                                        ; implicit-def: $vgpr64_vgpr65
	s_and_saveexec_b32 s1, s0
	s_cbranch_execz .LBB2_18
; %bb.17:
	flat_load_b64 v[50:51], v[52:53] offset:56
	s_wait_loadcnt_dscnt 0x0
	flat_load_b64 v[64:65], v[50:51] scope:SCOPE_SYS
	s_wait_loadcnt 0x0
	flat_load_b128 v[12:15], v[52:53] offset:96
.LBB2_18:
	s_wait_xcnt 0x0
	s_or_b32 exec_lo, exec_lo, s1
	v_mov_b64_e32 v[52:53], 0
	s_wait_loadcnt 0x0
	v_and_b32_e32 v30, 0xffff, v21
	s_mov_b32 s12, exec_lo
	v_cmpx_ne_u64_e32 0, v[6:7]
	s_cbranch_execnz .LBB2_34
; %bb.19:
	s_or_b32 exec_lo, exec_lo, s12
	s_and_saveexec_b32 s1, s9
	s_cbranch_execnz .LBB2_720
.LBB2_20:
	s_or_b32 exec_lo, exec_lo, s1
	s_and_saveexec_b32 s1, s0
	s_cbranch_execz .LBB2_22
.LBB2_21:
	s_wait_dscnt 0x0
	flat_store_b64 v[26:27], v[14:15] offset:104
.LBB2_22:
	s_wait_xcnt 0x0
	s_or_b32 exec_lo, exec_lo, s1
	s_delay_alu instid0(SALU_CYCLE_1)
	s_mov_b32 s0, exec_lo
	v_cmpx_ne_u32_e32 32, v20
	s_cbranch_execz .LBB2_727
; %bb.23:
	s_mov_b32 s1, exec_lo
	v_cmpx_ne_u32_e64 v20, v30
	s_xor_b32 s1, exec_lo, s1
	s_cbranch_execz .LBB2_725
; %bb.24:
	v_and_b32_e32 v0, 31, v31
	s_mov_b32 s2, exec_lo
	s_delay_alu instid0(VALU_DEP_1)
	v_cmpx_eq_u32_e32 0, v0
	s_cbranch_execz .LBB2_724
; %bb.25:
	s_mov_b32 s4, exec_lo
	s_mov_b32 s3, exec_lo
	v_mbcnt_lo_u32_b32 v0, s4, 0
	global_wb scope:SCOPE_DEV
	s_wait_storecnt 0x0
	s_wait_loadcnt_dscnt 0x0
	global_inv scope:SCOPE_DEV
	v_cmpx_eq_u32_e32 0, v0
	s_cbranch_execz .LBB2_27
; %bb.26:
	s_bcnt1_i32_b32 s4, s4
	s_delay_alu instid0(SALU_CYCLE_1)
	v_dual_mov_b32 v1, 0 :: v_dual_mov_b32 v0, s4
	s_wait_loadcnt 0x0
	ds_add_u64 v0, v[0:1]
	s_trap 2
.LBB2_27:
	s_or_b32 exec_lo, exec_lo, s3
	s_trap 2
	ds_load_b64 v[2:3], v0
	s_wait_dscnt 0x0
	v_dual_mov_b32 v1, 0 :: v_dual_lshrrev_b32 v0, 5, v20
	s_mov_b32 s3, exec_lo
	s_delay_alu instid0(VALU_DEP_1) | instskip(NEXT) | instid1(VALU_DEP_1)
	v_add_nc_u64_e32 v[0:1], v[52:53], v[0:1]
	v_cmpx_lt_u64_e64 v[2:3], v[0:1]
	s_cbranch_execz .LBB2_723
; %bb.28:
	s_mov_b32 s4, 0
	s_mov_b32 s7, 0
                                        ; implicit-def: $sgpr5
                                        ; implicit-def: $sgpr6
	s_branch .LBB2_30
.LBB2_29:                               ;   in Loop: Header=BB2_30 Depth=1
	s_or_b32 exec_lo, exec_lo, s9
	s_delay_alu instid0(SALU_CYCLE_1) | instskip(NEXT) | instid1(SALU_CYCLE_1)
	s_and_b32 s8, exec_lo, s10
	s_or_b32 s4, s8, s4
	s_and_not1_b32 s5, s5, exec_lo
	s_and_b32 s8, s6, exec_lo
	s_delay_alu instid0(SALU_CYCLE_1)
	s_or_b32 s5, s5, s8
	s_and_not1_b32 exec_lo, exec_lo, s4
	s_cbranch_execz .LBB2_721
.LBB2_30:                               ; =>This Inner Loop Header: Depth=1
	s_add_co_i32 s7, s7, 1
	s_delay_alu instid0(SALU_CYCLE_1) | instskip(SKIP_1) | instid1(SALU_CYCLE_1)
	s_cmp_lg_u32 s7, 0x2710
	s_cselect_b32 s8, -1, 0
	s_and_b32 vcc_lo, exec_lo, s8
	s_cbranch_vccz .LBB2_32
; %bb.31:                               ;   in Loop: Header=BB2_30 Depth=1
	s_mov_b32 s10, -1
	s_or_b32 s6, s6, exec_lo
	s_and_saveexec_b32 s9, s8
	s_cbranch_execz .LBB2_29
	s_branch .LBB2_33
.LBB2_32:                               ;   in Loop: Header=BB2_30 Depth=1
	s_trap 2
	ds_load_b64 v[2:3], v0
	s_and_not1_b32 s8, s8, exec_lo
	s_mov_b32 s7, 0
	s_wait_loadcnt_dscnt 0x0
	flat_load_b32 v2, v[2:3] scope:SCOPE_SYS
	s_wait_loadcnt_dscnt 0x0
	global_inv scope:SCOPE_SYS
	v_cmp_eq_u32_e32 vcc_lo, 0, v2
	s_and_b32 s9, vcc_lo, exec_lo
	s_delay_alu instid0(SALU_CYCLE_1)
	s_or_b32 s8, s8, s9
	s_mov_b32 s10, -1
	s_or_b32 s6, s6, exec_lo
	s_and_saveexec_b32 s9, s8
	s_cbranch_execz .LBB2_29
.LBB2_33:                               ;   in Loop: Header=BB2_30 Depth=1
	s_sleep 1
	s_trap 2
	ds_load_b64 v[2:3], v0
	s_wait_dscnt 0x0
	s_and_not1_b32 s6, s6, exec_lo
	v_cmp_ge_u64_e32 vcc_lo, v[2:3], v[0:1]
	s_or_not1_b32 s10, vcc_lo, exec_lo
	s_branch .LBB2_29
.LBB2_34:
	v_add_nc_u64_e32 v[2:3], v[68:69], v[4:5]
	v_mov_b32_e32 v55, 0
	s_ashr_i32 s1, s2, 31
	s_ashr_i32 s11, s10, 31
	s_lshr_b32 s1, s1, 29
	v_mov_b64_e32 v[80:81], 0
	s_add_co_i32 s2, s2, s1
	v_add_nc_u64_e32 v[68:69], v[2:3], v[18:19]
	v_dual_mov_b32 v67, v55 :: v_dual_bitop2_b32 v2, 31, v31 bitop3:0x40
	v_lshlrev_b32_e32 v82, 3, v0
	v_dual_mov_b32 v87, v55 :: v_dual_lshrrev_b32 v84, 5, v20
	v_mov_b32_e32 v21, v55
	s_delay_alu instid0(VALU_DEP_4)
	v_cmp_eq_u32_e64 s5, 0, v2
	v_add_nc_u64_e32 v[2:3], v[24:25], v[10:11]
	v_ashrrev_i32_e32 v83, 31, v82
	s_ashr_i32 s4, s2, 3
	s_ashr_i32 s13, s2, 7
	s_lshl_b64 s[2:3], s[10:11], 2
	v_cmp_ne_u64_e64 s1, 0, v[50:51]
	v_add_nc_u64_e32 v[70:71], s[2:3], v[22:23]
	s_wait_dscnt 0x0
	v_cmp_ne_u64_e64 s2, 0, v[12:13]
	v_add_nc_u64_e32 v[96:97], v[10:11], v[82:83]
	v_cmp_ne_u64_e64 s6, 0, v[48:49]
	v_add_nc_u64_e32 v[8:9], v[8:9], v[82:83]
	v_add_nc_u64_e32 v[98:99], v[2:3], v[82:83]
	v_lshlrev_b64_e32 v[102:103], 4, v[20:21]
	v_mov_b64_e32 v[52:53], 0
	v_and_b32_e32 v66, 0x1fffff0, v54
	s_and_b32 s11, s4, -16
	v_cmp_ne_u32_e64 s3, 32, v20
	v_cmp_ne_u32_e64 s4, v20, v30
	v_dual_mov_b32 v85, v55 :: v_dual_lshlrev_b32 v86, 3, v20
	v_lshlrev_b32_e32 v56, 6, v20
	v_lshl_add_u64 v[100:101], v[0:1], 4, v[36:37]
	v_dual_mov_b32 v1, 1 :: v_dual_mov_b32 v21, 0
	s_cmp_gt_i32 s10, 2
	s_mov_b32 s14, 0
	s_cselect_b32 s15, -1, 0
	s_branch .LBB2_36
.LBB2_35:                               ;   in Loop: Header=BB2_36 Depth=1
	s_wait_xcnt 0x0
	s_or_b32 exec_lo, exec_lo, s7
	v_add_nc_u64_e32 v[80:81], v[80:81], v[66:67]
	v_add_nc_u64_e32 v[34:35], 1, v[34:35]
	;; [unrolled: 1-line block ×3, first 2 shown]
	s_delay_alu instid0(VALU_DEP_3) | instskip(SKIP_1) | instid1(SALU_CYCLE_1)
	v_cmp_ge_u64_e32 vcc_lo, v[80:81], v[6:7]
	s_or_b32 s14, vcc_lo, s14
	s_and_not1_b32 exec_lo, exec_lo, s14
	s_cbranch_execz .LBB2_719
.LBB2_36:                               ; =>This Loop Header: Depth=1
                                        ;     Child Loop BB2_41 Depth 2
                                        ;     Child Loop BB2_60 Depth 2
	;; [unrolled: 1-line block ×5, first 2 shown]
                                        ;       Child Loop BB2_90 Depth 3
                                        ;       Child Loop BB2_109 Depth 3
	;; [unrolled: 1-line block ×3, first 2 shown]
                                        ;         Child Loop BB2_137 Depth 4
                                        ;       Child Loop BB2_401 Depth 3
                                        ;       Child Loop BB2_126 Depth 3
                                        ;     Child Loop BB2_417 Depth 2
                                        ;       Child Loop BB2_425 Depth 3
                                        ;     Child Loop BB2_707 Depth 2
	s_wait_loadcnt_dscnt 0x0
	flat_load_b32 v19, v[70:71] offset:-4
	v_sub_nc_u64_e32 v[2:3], v[6:7], v[80:81]
	s_delay_alu instid0(VALU_DEP_1) | instskip(NEXT) | instid1(VALU_DEP_1)
	v_min_u64 v[2:3], v[66:67], v[2:3]
	v_lshl_add_u32 v3, v2, 1, 14
	s_delay_alu instid0(VALU_DEP_1)
	v_and_b32_e32 v58, 0x7fffff0, v3
	s_wait_xcnt 0x0
	s_and_saveexec_b32 s8, s1
	s_cbranch_execz .LBB2_52
; %bb.37:                               ;   in Loop: Header=BB2_36 Depth=1
	v_add_nc_u64_e32 v[4:5], 1, v[14:15]
	v_add_nc_u64_e32 v[112:113], 8, v[64:65]
	s_mov_b32 s16, exec_lo
	s_delay_alu instid0(VALU_DEP_1)
	v_cmpx_lt_u64_e64 v[112:113], v[4:5]
	s_cbranch_execz .LBB2_49
; %bb.38:                               ;   in Loop: Header=BB2_36 Depth=1
	s_mov_b32 s17, 0
	s_mov_b32 s21, 0
	v_cmp_eq_u32_e32 vcc_lo, 0, v21
                                        ; implicit-def: $sgpr18
                                        ; implicit-def: $sgpr19
                                        ; implicit-def: $sgpr20
	s_branch .LBB2_41
.LBB2_39:                               ;   in Loop: Header=BB2_41 Depth=2
	s_or_b32 exec_lo, exec_lo, s26
	v_mov_b32_e32 v15, 0
	s_and_not1_b32 s7, s20, exec_lo
	s_and_b32 s20, s24, exec_lo
	s_and_not1_b32 s19, s19, exec_lo
	s_and_b32 s23, s23, exec_lo
	s_or_b32 s20, s7, s20
	s_or_b32 s19, s19, s23
.LBB2_40:                               ;   in Loop: Header=BB2_41 Depth=2
	s_or_b32 exec_lo, exec_lo, s22
	s_delay_alu instid0(SALU_CYCLE_1) | instskip(NEXT) | instid1(SALU_CYCLE_1)
	s_and_b32 s7, exec_lo, s19
	s_or_b32 s17, s7, s17
	s_and_not1_b32 s7, s18, exec_lo
	s_and_b32 s18, s20, exec_lo
	s_delay_alu instid0(SALU_CYCLE_1)
	s_or_b32 s18, s7, s18
	s_and_not1_b32 exec_lo, exec_lo, s17
	s_cbranch_execz .LBB2_46
.LBB2_41:                               ;   Parent Loop BB2_36 Depth=1
                                        ; =>  This Inner Loop Header: Depth=2
	s_sleep 1
	s_wait_loadcnt_dscnt 0x0
	flat_load_b64 v[64:65], v[50:51] scope:SCOPE_DEV
	v_mov_b32_e32 v15, v21
	s_or_b32 s20, s20, exec_lo
	s_or_b32 s19, s19, exec_lo
                                        ; implicit-def: $vgpr3
	s_wait_xcnt 0x0
	s_and_saveexec_b32 s22, vcc_lo
	s_cbranch_execz .LBB2_40
; %bb.42:                               ;   in Loop: Header=BB2_41 Depth=2
	s_add_co_i32 s21, s21, 1
	s_mov_b32 s23, -1
	s_cmp_lg_u32 s21, 0x2710
	s_mov_b32 s24, -1
	s_cselect_b32 s25, -1, 0
	s_cmp_eq_u32 s21, 0x2710
                                        ; implicit-def: $vgpr3
	s_cbranch_scc1 .LBB2_44
; %bb.43:                               ;   in Loop: Header=BB2_41 Depth=2
	s_and_saveexec_b32 s26, s25
	s_cbranch_execz .LBB2_39
	s_branch .LBB2_45
.LBB2_44:                               ;   in Loop: Header=BB2_41 Depth=2
	s_trap 2
	ds_load_b64 v[112:113], v0
	s_and_not1_b32 s21, s25, exec_lo
	s_mov_b32 s24, 0
	s_wait_storecnt 0x0
	s_wait_loadcnt_dscnt 0x0
	flat_load_b32 v3, v[112:113] scope:SCOPE_SYS
	s_wait_loadcnt_dscnt 0x0
	global_inv scope:SCOPE_SYS
	v_cmp_eq_u32_e64 s7, 0, v3
	s_and_b32 s7, s7, exec_lo
	s_delay_alu instid0(SALU_CYCLE_1)
	s_or_b32 s25, s21, s7
	s_mov_b32 s21, 0
	s_and_saveexec_b32 s26, s25
	s_cbranch_execz .LBB2_39
.LBB2_45:                               ;   in Loop: Header=BB2_41 Depth=2
	s_wait_loadcnt_dscnt 0x0
	v_add_nc_u64_e32 v[112:113], 8, v[64:65]
	s_or_b32 s24, s24, exec_lo
	s_delay_alu instid0(VALU_DEP_1)
	v_cmp_ge_u64_e64 s7, v[112:113], v[4:5]
	s_or_not1_b32 s23, s7, exec_lo
	s_branch .LBB2_39
.LBB2_46:                               ;   in Loop: Header=BB2_36 Depth=1
	s_or_b32 exec_lo, exec_lo, s17
	s_xor_b32 s7, s18, -1
	s_delay_alu instid0(SALU_CYCLE_1) | instskip(NEXT) | instid1(SALU_CYCLE_1)
	s_and_saveexec_b32 s17, s7
	s_xor_b32 s7, exec_lo, s17
	s_cbranch_execz .LBB2_48
; %bb.47:                               ;   in Loop: Header=BB2_36 Depth=1
	v_mov_b32_e32 v15, 1
	s_wait_storecnt 0x0
	s_wait_loadcnt_dscnt 0x0
	ds_store_b32 v0, v3
	s_trap 2
.LBB2_48:                               ;   in Loop: Header=BB2_36 Depth=1
	s_or_b32 exec_lo, exec_lo, s7
	v_mov_b32_e32 v21, v15
.LBB2_49:                               ;   in Loop: Header=BB2_36 Depth=1
	s_or_b32 exec_lo, exec_lo, s16
	s_and_saveexec_b32 s7, s2
	s_cbranch_execz .LBB2_51
; %bb.50:                               ;   in Loop: Header=BB2_36 Depth=1
	v_and_b32_e32 v54, 0x7ffffff8, v14
	s_delay_alu instid0(VALU_DEP_1) | instskip(SKIP_1) | instid1(VALU_DEP_1)
	v_cmp_eq_u64_e32 vcc_lo, 0x7ffffff8, v[54:55]
	v_cndmask_b32_e64 v112, v58, s11, vcc_lo
	v_dual_ashrrev_i32 v113, 31, v112 :: v_dual_bitop2_b32 v3, 7, v14 bitop3:0x40
	s_delay_alu instid0(VALU_DEP_1)
	v_mad_nc_u64_u32 v[14:15], v3, 24, v[12:13]
	flat_store_b64 v[14:15], v[112:113] offset:8 scope:SCOPE_SYS
	s_wait_storecnt 0x0
.LBB2_51:                               ;   in Loop: Header=BB2_36 Depth=1
	s_wait_xcnt 0x0
	s_or_b32 exec_lo, exec_lo, s7
	v_mov_b64_e32 v[14:15], v[4:5]
.LBB2_52:                               ;   in Loop: Header=BB2_36 Depth=1
	s_or_b32 exec_lo, exec_lo, s8
	s_and_saveexec_b32 s7, s3
	s_cbranch_execz .LBB2_71
; %bb.53:                               ;   in Loop: Header=BB2_36 Depth=1
	s_and_saveexec_b32 s8, s4
	s_delay_alu instid0(SALU_CYCLE_1)
	s_xor_b32 s8, exec_lo, s8
	s_cbranch_execz .LBB2_68
; %bb.54:                               ;   in Loop: Header=BB2_36 Depth=1
	s_and_saveexec_b32 s16, s5
	s_cbranch_execz .LBB2_67
; %bb.55:                               ;   in Loop: Header=BB2_36 Depth=1
	s_mov_b32 s18, exec_lo
	s_mov_b32 s17, exec_lo
	v_mbcnt_lo_u32_b32 v3, s18, 0
	global_wb scope:SCOPE_DEV
	s_wait_storecnt 0x0
	s_wait_loadcnt_dscnt 0x0
	global_inv scope:SCOPE_DEV
	v_cmpx_eq_u32_e32 0, v3
	s_cbranch_execz .LBB2_57
; %bb.56:                               ;   in Loop: Header=BB2_36 Depth=1
	s_bcnt1_i32_b32 s18, s18
	s_delay_alu instid0(SALU_CYCLE_1)
	v_mov_b32_e32 v54, s18
	s_wait_loadcnt 0x0
	ds_add_u64 v0, v[54:55]
	s_trap 2
.LBB2_57:                               ;   in Loop: Header=BB2_36 Depth=1
	s_or_b32 exec_lo, exec_lo, s17
	s_trap 2
	ds_load_b64 v[4:5], v0
	s_wait_dscnt 0x0
	v_add_nc_u64_e32 v[52:53], v[52:53], v[84:85]
	s_mov_b32 s17, exec_lo
	s_delay_alu instid0(VALU_DEP_1)
	v_cmpx_lt_u64_e64 v[4:5], v[52:53]
	s_cbranch_execz .LBB2_66
; %bb.58:                               ;   in Loop: Header=BB2_36 Depth=1
	s_mov_b32 s18, 0
	s_mov_b32 s21, 0
                                        ; implicit-def: $sgpr19
                                        ; implicit-def: $sgpr20
	s_branch .LBB2_60
.LBB2_59:                               ;   in Loop: Header=BB2_60 Depth=2
	s_or_b32 exec_lo, exec_lo, s23
	s_delay_alu instid0(SALU_CYCLE_1) | instskip(NEXT) | instid1(SALU_CYCLE_1)
	s_and_b32 s22, exec_lo, s24
	s_or_b32 s18, s22, s18
	s_and_not1_b32 s19, s19, exec_lo
	s_and_b32 s22, s20, exec_lo
	s_delay_alu instid0(SALU_CYCLE_1)
	s_or_b32 s19, s19, s22
	s_and_not1_b32 exec_lo, exec_lo, s18
	s_cbranch_execz .LBB2_64
.LBB2_60:                               ;   Parent Loop BB2_36 Depth=1
                                        ; =>  This Inner Loop Header: Depth=2
	s_add_co_i32 s21, s21, 1
	s_delay_alu instid0(SALU_CYCLE_1) | instskip(SKIP_1) | instid1(SALU_CYCLE_1)
	s_cmp_lg_u32 s21, 0x2710
	s_cselect_b32 s22, -1, 0
	s_and_b32 vcc_lo, exec_lo, s22
	s_cbranch_vccz .LBB2_62
; %bb.61:                               ;   in Loop: Header=BB2_60 Depth=2
	s_mov_b32 s24, -1
	s_or_b32 s20, s20, exec_lo
	s_and_saveexec_b32 s23, s22
	s_cbranch_execz .LBB2_59
	s_branch .LBB2_63
.LBB2_62:                               ;   in Loop: Header=BB2_60 Depth=2
	s_trap 2
	ds_load_b64 v[4:5], v0
	s_and_not1_b32 s22, s22, exec_lo
	s_mov_b32 s21, 0
	s_wait_loadcnt_dscnt 0x0
	flat_load_b32 v3, v[4:5] scope:SCOPE_SYS
	s_wait_loadcnt_dscnt 0x0
	global_inv scope:SCOPE_SYS
	v_cmp_eq_u32_e32 vcc_lo, 0, v3
	s_and_b32 s23, vcc_lo, exec_lo
	s_delay_alu instid0(SALU_CYCLE_1)
	s_or_b32 s22, s22, s23
	s_mov_b32 s24, -1
	s_or_b32 s20, s20, exec_lo
	s_and_saveexec_b32 s23, s22
	s_cbranch_execz .LBB2_59
.LBB2_63:                               ;   in Loop: Header=BB2_60 Depth=2
	s_sleep 1
	s_trap 2
	ds_load_b64 v[4:5], v0
	s_wait_dscnt 0x0
	s_and_not1_b32 s20, s20, exec_lo
	v_cmp_ge_u64_e32 vcc_lo, v[4:5], v[52:53]
	s_or_not1_b32 s24, vcc_lo, exec_lo
	s_branch .LBB2_59
.LBB2_64:                               ;   in Loop: Header=BB2_36 Depth=1
	s_or_b32 exec_lo, exec_lo, s18
	s_and_saveexec_b32 s18, s19
	s_delay_alu instid0(SALU_CYCLE_1)
	s_xor_b32 s18, exec_lo, s18
	s_cbranch_execz .LBB2_66
; %bb.65:                               ;   in Loop: Header=BB2_36 Depth=1
	ds_store_b32 v0, v1
	s_trap 2
.LBB2_66:                               ;   in Loop: Header=BB2_36 Depth=1
	s_or_b32 exec_lo, exec_lo, s17
	;;#ASMSTART
	s_wakeup
	;;#ASMEND
.LBB2_67:                               ;   in Loop: Header=BB2_36 Depth=1
	s_or_b32 exec_lo, exec_lo, s16
.LBB2_68:                               ;   in Loop: Header=BB2_36 Depth=1
	s_and_not1_saveexec_b32 s8, s8
	s_cbranch_execz .LBB2_70
; %bb.69:                               ;   in Loop: Header=BB2_36 Depth=1
	global_wb scope:SCOPE_DEV
	s_wait_storecnt 0x0
	s_wait_loadcnt_dscnt 0x0
	global_inv scope:SCOPE_DEV
	s_barrier_signal -1
	s_barrier_wait -1
.LBB2_70:                               ;   in Loop: Header=BB2_36 Depth=1
	s_or_b32 exec_lo, exec_lo, s8
.LBB2_71:                               ;   in Loop: Header=BB2_36 Depth=1
	s_delay_alu instid0(SALU_CYCLE_1) | instskip(SKIP_2) | instid1(VALU_DEP_2)
	s_or_b32 exec_lo, exec_lo, s7
	v_dual_sub_nc_u32 v57, v2, v82 :: v_dual_bitop2_b32 v116, 7, v16 bitop3:0x40
	v_dual_mov_b32 v18, v0 :: v_dual_add_nc_u32 v3, 1, v16
	v_cmp_lt_i32_e64 s7, 0, v57
	s_and_saveexec_b32 s8, s7
	s_cbranch_execz .LBB2_79
; %bb.72:                               ;   in Loop: Header=BB2_36 Depth=1
	s_wait_loadcnt_dscnt 0x0
	v_mad_nc_u64_u32 v[112:113], v68, v19, v[98:99]
	v_mul_lo_u32 v4, v116, s13
	v_mul_lo_u32 v18, v68, v19
	v_mov_b32_e32 v117, v57
	s_mov_b32 s16, 0
	s_delay_alu instid0(VALU_DEP_4) | instskip(NEXT) | instid1(VALU_DEP_4)
	v_mad_u32 v2, v69, v19, v113
	v_dual_ashrrev_i32 v19, 31, v19 :: v_dual_ashrrev_i32 v5, 31, v4
	s_delay_alu instid0(VALU_DEP_1) | instskip(NEXT) | instid1(VALU_DEP_2)
	v_lshl_add_u64 v[114:115], v[4:5], 4, v[100:101]
	v_mad_u32 v113, v68, v19, v2
	v_add_lshl_u32 v19, v98, v18, 3
	v_mov_b32_e32 v18, v0
	s_branch .LBB2_74
.LBB2_73:                               ;   in Loop: Header=BB2_74 Depth=2
	s_wait_xcnt 0x0
	s_or_b32 exec_lo, exec_lo, s17
	s_wait_loadcnt 0x0
	v_alignbit_b32 v2, v119, v2, v19
	v_alignbit_b32 v4, v118, v119, v19
	v_dual_mov_b32 v5, v3 :: v_dual_sub_nc_u32 v117, v117, v86
	v_add_nc_u64_e32 v[112:113], v[112:113], v[86:87]
	v_add_nc_u32_e32 v18, v18, v20
	v_add_nc_u32_e32 v19, v19, v56
	global_store_b128 v[114:115], v[2:5], off
	v_cmp_gt_i32_e32 vcc_lo, 1, v117
	s_wait_xcnt 0x0
	v_add_nc_u64_e32 v[114:115], v[114:115], v[102:103]
	s_or_b32 s16, vcc_lo, s16
	s_delay_alu instid0(SALU_CYCLE_1)
	s_and_not1_b32 exec_lo, exec_lo, s16
	s_cbranch_execz .LBB2_78
.LBB2_74:                               ;   Parent Loop BB2_36 Depth=1
                                        ; =>  This Inner Loop Header: Depth=2
	s_delay_alu instid0(VALU_DEP_3)
	v_dual_mov_b32 v5, v113 :: v_dual_bitop2_b32 v4, -4, v112 bitop3:0x40
	v_min_u32_e32 v54, 8, v117
	v_dual_mov_b32 v119, 0 :: v_dual_bitop2_b32 v118, 3, v112 bitop3:0x40
	s_mov_b32 s17, exec_lo
	global_load_b32 v2, v[4:5], off th:TH_LOAD_NT
	v_dual_add_nc_u32 v54, v118, v54 :: v_dual_mov_b32 v118, 0
	s_wait_xcnt 0x0
	s_delay_alu instid0(VALU_DEP_1)
	v_cmpx_lt_u32_e32 4, v54
	s_cbranch_execz .LBB2_76
; %bb.75:                               ;   in Loop: Header=BB2_74 Depth=2
	global_load_b32 v119, v[4:5], off offset:4 th:TH_LOAD_NT
.LBB2_76:                               ;   in Loop: Header=BB2_74 Depth=2
	s_wait_xcnt 0x0
	s_or_b32 exec_lo, exec_lo, s17
	s_delay_alu instid0(SALU_CYCLE_1)
	s_mov_b32 s17, exec_lo
	v_cmpx_lt_u64_e32 8, v[54:55]
	s_cbranch_execz .LBB2_73
; %bb.77:                               ;   in Loop: Header=BB2_74 Depth=2
	global_load_b32 v118, v[4:5], off offset:8 th:TH_LOAD_NT
	s_branch .LBB2_73
.LBB2_78:                               ;   in Loop: Header=BB2_36 Depth=1
	s_or_b32 exec_lo, exec_lo, s16
.LBB2_79:                               ;   in Loop: Header=BB2_36 Depth=1
	s_delay_alu instid0(SALU_CYCLE_1) | instskip(SKIP_2) | instid1(VALU_DEP_2)
	s_or_b32 exec_lo, exec_lo, s8
	v_and_b32_e32 v54, 0x7ffffff8, v16
	v_cmp_gt_i32_e64 s8, s13, v18
	v_cmp_eq_u64_e32 vcc_lo, 0x7ffffff8, v[54:55]
	s_and_b32 s16, vcc_lo, s8
	s_delay_alu instid0(SALU_CYCLE_1)
	s_and_saveexec_b32 s8, s16
	s_cbranch_execz .LBB2_82
; %bb.80:                               ;   in Loop: Header=BB2_36 Depth=1
	v_mul_lo_u32 v4, v116, s13
	v_mov_b32_e32 v2, v55
	s_mov_b32 s16, 0
	s_wait_loadcnt_dscnt 0x0
	s_delay_alu instid0(VALU_DEP_2) | instskip(NEXT) | instid1(VALU_DEP_1)
	v_dual_ashrrev_i32 v19, 31, v18 :: v_dual_ashrrev_i32 v5, 31, v4
	v_lshlrev_b64_e32 v[4:5], 4, v[4:5]
	s_delay_alu instid0(VALU_DEP_1) | instskip(NEXT) | instid1(VALU_DEP_1)
	v_lshl_add_u64 v[4:5], v[18:19], 4, v[4:5]
	v_add_nc_u64_e32 v[112:113], v[36:37], v[4:5]
.LBB2_81:                               ;   Parent Loop BB2_36 Depth=1
                                        ; =>  This Inner Loop Header: Depth=2
	v_dual_mov_b32 v4, v2 :: v_dual_mov_b32 v5, v3
	v_add_nc_u32_e32 v18, v18, v20
	global_store_b128 v[112:113], v[2:5], off
	v_cmp_le_i32_e32 vcc_lo, s13, v18
	s_wait_xcnt 0x0
	v_add_nc_u64_e32 v[112:113], v[112:113], v[102:103]
	s_or_b32 s16, vcc_lo, s16
	s_delay_alu instid0(SALU_CYCLE_1)
	s_and_not1_b32 exec_lo, exec_lo, s16
	s_cbranch_execnz .LBB2_81
.LBB2_82:                               ;   in Loop: Header=BB2_36 Depth=1
	s_or_b32 exec_lo, exec_lo, s8
	v_add_nc_u64_e32 v[112:113], v[80:81], v[24:25]
	v_add_nc_u64_e32 v[114:115], 1, v[16:17]
	s_and_not1_b32 vcc_lo, exec_lo, s15
	s_cbranch_vccnz .LBB2_412
; %bb.83:                               ;   in Loop: Header=BB2_36 Depth=1
	s_delay_alu instid0(VALU_DEP_2)
	v_add_nc_u64_e32 v[116:117], v[96:97], v[112:113]
	v_add_nc_u16 v59, v16, 1
	s_mov_b32 s16, 2
	s_branch .LBB2_85
.LBB2_84:                               ;   in Loop: Header=BB2_85 Depth=2
	s_or_b32 exec_lo, exec_lo, s8
	v_add_nc_u64_e32 v[34:35], 1, v[34:35]
	v_add_nc_u64_e32 v[114:115], 1, v[114:115]
	v_add_nc_u16 v59, v59, 1
	s_add_co_i32 s16, s16, 1
	s_delay_alu instid0(SALU_CYCLE_1)
	s_cmp_eq_u32 s16, s10
	s_cbranch_scc1 .LBB2_412
.LBB2_85:                               ;   Parent Loop BB2_36 Depth=1
                                        ; =>  This Loop Header: Depth=2
                                        ;       Child Loop BB2_90 Depth 3
                                        ;       Child Loop BB2_109 Depth 3
	;; [unrolled: 1-line block ×3, first 2 shown]
                                        ;         Child Loop BB2_137 Depth 4
                                        ;       Child Loop BB2_401 Depth 3
                                        ;       Child Loop BB2_126 Depth 3
	s_sub_co_i32 s8, s10, s16
	v_readfirstlane_b32 s18, v22
	v_mov_b32_e32 v2, s8
	v_readfirstlane_b32 s19, v23
	s_wait_loadcnt_dscnt 0x0
	flat_load_b32 v4, v2, s[18:19] scale_offset
	s_wait_xcnt 0x0
	s_and_saveexec_b32 s17, s1
	s_cbranch_execz .LBB2_101
; %bb.86:                               ;   in Loop: Header=BB2_85 Depth=2
	v_add_nc_u64_e32 v[2:3], 1, v[14:15]
	s_wait_loadcnt_dscnt 0x101
	v_add_nc_u64_e32 v[16:17], 8, v[64:65]
	s_mov_b32 s18, exec_lo
	s_delay_alu instid0(VALU_DEP_1)
	v_cmpx_lt_u64_e64 v[16:17], v[2:3]
	s_cbranch_execz .LBB2_98
; %bb.87:                               ;   in Loop: Header=BB2_85 Depth=2
	s_mov_b32 s19, 0
	s_mov_b32 s23, 0
	v_cmp_eq_u32_e32 vcc_lo, 0, v21
                                        ; implicit-def: $sgpr20
                                        ; implicit-def: $sgpr21
                                        ; implicit-def: $sgpr22
	s_branch .LBB2_90
.LBB2_88:                               ;   in Loop: Header=BB2_90 Depth=3
	s_or_b32 exec_lo, exec_lo, s28
	v_mov_b32_e32 v15, 0
	s_and_not1_b32 s8, s22, exec_lo
	s_and_b32 s22, s26, exec_lo
	s_and_not1_b32 s21, s21, exec_lo
	s_and_b32 s25, s25, exec_lo
	s_or_b32 s22, s8, s22
	s_or_b32 s21, s21, s25
.LBB2_89:                               ;   in Loop: Header=BB2_90 Depth=3
	s_or_b32 exec_lo, exec_lo, s24
	s_delay_alu instid0(SALU_CYCLE_1) | instskip(NEXT) | instid1(SALU_CYCLE_1)
	s_and_b32 s8, exec_lo, s21
	s_or_b32 s19, s8, s19
	s_and_not1_b32 s8, s20, exec_lo
	s_and_b32 s20, s22, exec_lo
	s_delay_alu instid0(SALU_CYCLE_1)
	s_or_b32 s20, s8, s20
	s_and_not1_b32 exec_lo, exec_lo, s19
	s_cbranch_execz .LBB2_95
.LBB2_90:                               ;   Parent Loop BB2_36 Depth=1
                                        ;     Parent Loop BB2_85 Depth=2
                                        ; =>    This Inner Loop Header: Depth=3
	s_sleep 1
	s_wait_loadcnt_dscnt 0x0
	flat_load_b64 v[64:65], v[50:51] scope:SCOPE_DEV
	v_mov_b32_e32 v15, v21
	s_or_b32 s22, s22, exec_lo
	s_or_b32 s21, s21, exec_lo
                                        ; implicit-def: $vgpr5
	s_wait_xcnt 0x0
	s_and_saveexec_b32 s24, vcc_lo
	s_cbranch_execz .LBB2_89
; %bb.91:                               ;   in Loop: Header=BB2_90 Depth=3
	s_add_co_i32 s23, s23, 1
	s_mov_b32 s25, -1
	s_cmp_lg_u32 s23, 0x2710
	s_mov_b32 s26, -1
	s_cselect_b32 s27, -1, 0
	s_cmp_eq_u32 s23, 0x2710
                                        ; implicit-def: $vgpr5
	s_cbranch_scc1 .LBB2_93
; %bb.92:                               ;   in Loop: Header=BB2_90 Depth=3
	s_and_saveexec_b32 s28, s27
	s_cbranch_execz .LBB2_88
	s_branch .LBB2_94
.LBB2_93:                               ;   in Loop: Header=BB2_90 Depth=3
	s_trap 2
	ds_load_b64 v[16:17], v0
	s_and_not1_b32 s23, s27, exec_lo
	s_mov_b32 s26, 0
	s_wait_storecnt 0x0
	s_wait_loadcnt_dscnt 0x0
	flat_load_b32 v5, v[16:17] scope:SCOPE_SYS
	s_wait_loadcnt_dscnt 0x0
	global_inv scope:SCOPE_SYS
	v_cmp_eq_u32_e64 s8, 0, v5
	s_and_b32 s8, s8, exec_lo
	s_delay_alu instid0(SALU_CYCLE_1)
	s_or_b32 s27, s23, s8
	s_mov_b32 s23, 0
	s_and_saveexec_b32 s28, s27
	s_cbranch_execz .LBB2_88
.LBB2_94:                               ;   in Loop: Header=BB2_90 Depth=3
	s_wait_loadcnt_dscnt 0x0
	v_add_nc_u64_e32 v[16:17], 8, v[64:65]
	s_or_b32 s26, s26, exec_lo
	s_delay_alu instid0(VALU_DEP_1)
	v_cmp_ge_u64_e64 s8, v[16:17], v[2:3]
	s_or_not1_b32 s25, s8, exec_lo
	s_branch .LBB2_88
.LBB2_95:                               ;   in Loop: Header=BB2_85 Depth=2
	s_or_b32 exec_lo, exec_lo, s19
	s_xor_b32 s8, s20, -1
	s_delay_alu instid0(SALU_CYCLE_1) | instskip(NEXT) | instid1(SALU_CYCLE_1)
	s_and_saveexec_b32 s19, s8
	s_xor_b32 s8, exec_lo, s19
	s_cbranch_execz .LBB2_97
; %bb.96:                               ;   in Loop: Header=BB2_85 Depth=2
	v_mov_b32_e32 v15, 1
	s_wait_storecnt 0x0
	s_wait_loadcnt_dscnt 0x0
	ds_store_b32 v0, v5
	s_trap 2
.LBB2_97:                               ;   in Loop: Header=BB2_85 Depth=2
	s_or_b32 exec_lo, exec_lo, s8
	v_mov_b32_e32 v21, v15
.LBB2_98:                               ;   in Loop: Header=BB2_85 Depth=2
	s_or_b32 exec_lo, exec_lo, s18
	s_and_saveexec_b32 s8, s2
	s_cbranch_execz .LBB2_100
; %bb.99:                               ;   in Loop: Header=BB2_85 Depth=2
	v_and_b32_e32 v54, 0x7ffffff8, v14
	s_delay_alu instid0(VALU_DEP_1) | instskip(SKIP_1) | instid1(VALU_DEP_1)
	v_cmp_eq_u64_e32 vcc_lo, 0x7ffffff8, v[54:55]
	v_cndmask_b32_e64 v16, v58, s11, vcc_lo
	v_dual_ashrrev_i32 v17, 31, v16 :: v_dual_bitop2_b32 v5, 7, v14 bitop3:0x40
	s_delay_alu instid0(VALU_DEP_1)
	v_mad_nc_u64_u32 v[14:15], v5, 24, v[12:13]
	flat_store_b64 v[14:15], v[16:17] offset:8 scope:SCOPE_SYS
	s_wait_storecnt 0x0
.LBB2_100:                              ;   in Loop: Header=BB2_85 Depth=2
	s_wait_xcnt 0x0
	s_or_b32 exec_lo, exec_lo, s8
	v_mov_b64_e32 v[14:15], v[2:3]
.LBB2_101:                              ;   in Loop: Header=BB2_85 Depth=2
	s_or_b32 exec_lo, exec_lo, s17
	s_and_saveexec_b32 s8, s3
	s_cbranch_execz .LBB2_120
; %bb.102:                              ;   in Loop: Header=BB2_85 Depth=2
	s_and_saveexec_b32 s17, s4
	s_delay_alu instid0(SALU_CYCLE_1)
	s_xor_b32 s17, exec_lo, s17
	s_cbranch_execz .LBB2_117
; %bb.103:                              ;   in Loop: Header=BB2_85 Depth=2
	s_and_saveexec_b32 s18, s5
	s_cbranch_execz .LBB2_116
; %bb.104:                              ;   in Loop: Header=BB2_85 Depth=2
	s_mov_b32 s20, exec_lo
	s_mov_b32 s19, exec_lo
	v_mbcnt_lo_u32_b32 v2, s20, 0
	global_wb scope:SCOPE_DEV
	s_wait_storecnt 0x0
	s_wait_loadcnt_dscnt 0x0
	global_inv scope:SCOPE_DEV
	v_cmpx_eq_u32_e32 0, v2
	s_cbranch_execz .LBB2_106
; %bb.105:                              ;   in Loop: Header=BB2_85 Depth=2
	s_bcnt1_i32_b32 s20, s20
	s_delay_alu instid0(SALU_CYCLE_1)
	v_mov_b32_e32 v54, s20
	s_wait_loadcnt 0x0
	ds_add_u64 v0, v[54:55]
	s_trap 2
.LBB2_106:                              ;   in Loop: Header=BB2_85 Depth=2
	s_or_b32 exec_lo, exec_lo, s19
	s_trap 2
	ds_load_b64 v[2:3], v0
	s_wait_dscnt 0x0
	v_add_nc_u64_e32 v[52:53], v[52:53], v[84:85]
	s_mov_b32 s19, exec_lo
	s_delay_alu instid0(VALU_DEP_1)
	v_cmpx_lt_u64_e64 v[2:3], v[52:53]
	s_cbranch_execz .LBB2_115
; %bb.107:                              ;   in Loop: Header=BB2_85 Depth=2
	s_mov_b32 s20, 0
	s_mov_b32 s23, 0
                                        ; implicit-def: $sgpr21
                                        ; implicit-def: $sgpr22
	s_branch .LBB2_109
.LBB2_108:                              ;   in Loop: Header=BB2_109 Depth=3
	s_or_b32 exec_lo, exec_lo, s25
	s_delay_alu instid0(SALU_CYCLE_1) | instskip(NEXT) | instid1(SALU_CYCLE_1)
	s_and_b32 s24, exec_lo, s26
	s_or_b32 s20, s24, s20
	s_and_not1_b32 s21, s21, exec_lo
	s_and_b32 s24, s22, exec_lo
	s_delay_alu instid0(SALU_CYCLE_1)
	s_or_b32 s21, s21, s24
	s_and_not1_b32 exec_lo, exec_lo, s20
	s_cbranch_execz .LBB2_113
.LBB2_109:                              ;   Parent Loop BB2_36 Depth=1
                                        ;     Parent Loop BB2_85 Depth=2
                                        ; =>    This Inner Loop Header: Depth=3
	s_add_co_i32 s23, s23, 1
	s_delay_alu instid0(SALU_CYCLE_1) | instskip(SKIP_1) | instid1(SALU_CYCLE_1)
	s_cmp_lg_u32 s23, 0x2710
	s_cselect_b32 s24, -1, 0
	s_and_b32 vcc_lo, exec_lo, s24
	s_cbranch_vccz .LBB2_111
; %bb.110:                              ;   in Loop: Header=BB2_109 Depth=3
	s_mov_b32 s26, -1
	s_or_b32 s22, s22, exec_lo
	s_and_saveexec_b32 s25, s24
	s_cbranch_execz .LBB2_108
	s_branch .LBB2_112
.LBB2_111:                              ;   in Loop: Header=BB2_109 Depth=3
	s_trap 2
	ds_load_b64 v[2:3], v0
	s_and_not1_b32 s24, s24, exec_lo
	s_mov_b32 s23, 0
	s_wait_loadcnt_dscnt 0x0
	flat_load_b32 v2, v[2:3] scope:SCOPE_SYS
	s_wait_loadcnt_dscnt 0x0
	global_inv scope:SCOPE_SYS
	v_cmp_eq_u32_e32 vcc_lo, 0, v2
	s_and_b32 s25, vcc_lo, exec_lo
	s_delay_alu instid0(SALU_CYCLE_1)
	s_or_b32 s24, s24, s25
	s_mov_b32 s26, -1
	s_or_b32 s22, s22, exec_lo
	s_and_saveexec_b32 s25, s24
	s_cbranch_execz .LBB2_108
.LBB2_112:                              ;   in Loop: Header=BB2_109 Depth=3
	s_sleep 1
	s_trap 2
	ds_load_b64 v[2:3], v0
	s_wait_dscnt 0x0
	s_and_not1_b32 s22, s22, exec_lo
	v_cmp_ge_u64_e32 vcc_lo, v[2:3], v[52:53]
	s_or_not1_b32 s26, vcc_lo, exec_lo
	s_branch .LBB2_108
.LBB2_113:                              ;   in Loop: Header=BB2_85 Depth=2
	s_or_b32 exec_lo, exec_lo, s20
	s_and_saveexec_b32 s20, s21
	s_delay_alu instid0(SALU_CYCLE_1)
	s_xor_b32 s20, exec_lo, s20
	s_cbranch_execz .LBB2_115
; %bb.114:                              ;   in Loop: Header=BB2_85 Depth=2
	ds_store_b32 v0, v1
	s_trap 2
.LBB2_115:                              ;   in Loop: Header=BB2_85 Depth=2
	s_or_b32 exec_lo, exec_lo, s19
	;;#ASMSTART
	s_wakeup
	;;#ASMEND
.LBB2_116:                              ;   in Loop: Header=BB2_85 Depth=2
	s_or_b32 exec_lo, exec_lo, s18
.LBB2_117:                              ;   in Loop: Header=BB2_85 Depth=2
	s_and_not1_saveexec_b32 s17, s17
	s_cbranch_execz .LBB2_119
; %bb.118:                              ;   in Loop: Header=BB2_85 Depth=2
	global_wb scope:SCOPE_DEV
	s_wait_storecnt 0x0
	s_wait_loadcnt_dscnt 0x0
	global_inv scope:SCOPE_DEV
	s_barrier_signal -1
	s_barrier_wait -1
.LBB2_119:                              ;   in Loop: Header=BB2_85 Depth=2
	s_or_b32 exec_lo, exec_lo, s17
.LBB2_120:                              ;   in Loop: Header=BB2_85 Depth=2
	s_delay_alu instid0(SALU_CYCLE_1)
	s_or_b32 exec_lo, exec_lo, s8
	v_dual_mov_b32 v118, v0 :: v_dual_add_nc_u32 v3, 1, v114
	s_and_saveexec_b32 s17, s7
	s_cbranch_execnz .LBB2_127
; %bb.121:                              ;   in Loop: Header=BB2_85 Depth=2
	s_or_b32 exec_lo, exec_lo, s17
	s_and_saveexec_b32 s8, s3
	s_cbranch_execnz .LBB2_394
.LBB2_122:                              ;   in Loop: Header=BB2_85 Depth=2
	s_or_b32 exec_lo, exec_lo, s8
	s_and_saveexec_b32 s8, s6
	s_cbranch_execz .LBB2_124
.LBB2_123:                              ;   in Loop: Header=BB2_85 Depth=2
	v_add_nc_u64_e32 v[38:39], 1, v[38:39]
	global_wb scope:SCOPE_SYS
	s_wait_storecnt 0x0
	s_wait_loadcnt_dscnt 0x0
	flat_store_b64 v[48:49], v[38:39] scope:SCOPE_SYS
.LBB2_124:                              ;   in Loop: Header=BB2_85 Depth=2
	s_wait_xcnt 0x0
	s_or_b32 exec_lo, exec_lo, s8
	v_and_b32_e32 v54, 0x7ffffff8, v114
	v_cmp_gt_i32_e64 s8, s13, v118
	s_delay_alu instid0(VALU_DEP_2) | instskip(SKIP_1) | instid1(SALU_CYCLE_1)
	v_cmp_eq_u64_e32 vcc_lo, 0x7ffffff8, v[54:55]
	s_and_b32 s17, vcc_lo, s8
	s_and_saveexec_b32 s8, s17
	s_cbranch_execz .LBB2_84
; %bb.125:                              ;   in Loop: Header=BB2_85 Depth=2
	v_dual_ashrrev_i32 v119, 31, v118 :: v_dual_bitop2_b32 v2, 7, v59 bitop3:0x40
	s_mov_b32 s17, 0
	s_wait_loadcnt_dscnt 0x0
	s_delay_alu instid0(VALU_DEP_1) | instskip(NEXT) | instid1(VALU_DEP_1)
	v_mul_lo_u32 v4, s13, v2
	v_dual_mov_b32 v2, v55 :: v_dual_ashrrev_i32 v5, 31, v4
	s_delay_alu instid0(VALU_DEP_1) | instskip(NEXT) | instid1(VALU_DEP_1)
	v_lshlrev_b64_e32 v[4:5], 4, v[4:5]
	v_lshl_add_u64 v[4:5], v[118:119], 4, v[4:5]
	s_delay_alu instid0(VALU_DEP_1)
	v_add_nc_u64_e32 v[16:17], v[36:37], v[4:5]
.LBB2_126:                              ;   Parent Loop BB2_36 Depth=1
                                        ;     Parent Loop BB2_85 Depth=2
                                        ; =>    This Inner Loop Header: Depth=3
	s_delay_alu instid0(VALU_DEP_4)
	v_dual_mov_b32 v4, v2 :: v_dual_mov_b32 v5, v3
	v_add_nc_u32_e32 v118, v118, v20
	global_store_b128 v[16:17], v[2:5], off
	v_cmp_le_i32_e32 vcc_lo, s13, v118
	s_wait_xcnt 0x0
	v_add_nc_u64_e32 v[16:17], v[16:17], v[102:103]
	s_or_b32 s17, vcc_lo, s17
	s_delay_alu instid0(SALU_CYCLE_1)
	s_and_not1_b32 exec_lo, exec_lo, s17
	s_cbranch_execnz .LBB2_126
	s_branch .LBB2_84
.LBB2_127:                              ;   in Loop: Header=BB2_85 Depth=2
	v_and_b32_e32 v2, 7, v34
	s_wait_loadcnt_dscnt 0x0
	v_mad_nc_u64_u32 v[40:41], v68, v4, v[116:117]
	v_dual_add_nc_u32 v60, 1, v34 :: v_dual_mov_b32 v118, v0
	s_mov_b32 s18, 0
	v_mul_lo_u32 v16, v2, s13
	v_dual_mov_b32 v61, v57 :: v_dual_bitop2_b32 v5, 7, v114 bitop3:0x40
	s_delay_alu instid0(VALU_DEP_4) | instskip(SKIP_1) | instid1(VALU_DEP_4)
	v_mad_u32 v2, v69, v4, v41
	v_ashrrev_i32_e32 v4, 31, v4
	v_ashrrev_i32_e32 v17, 31, v16
	s_delay_alu instid0(VALU_DEP_4) | instskip(NEXT) | instid1(VALU_DEP_2)
	v_mul_lo_u32 v18, v5, s13
	v_lshl_add_u64 v[42:43], v[16:17], 4, v[32:33]
	s_delay_alu instid0(VALU_DEP_4) | instskip(NEXT) | instid1(VALU_DEP_3)
	v_mad_u32 v41, v68, v4, v2
	v_ashrrev_i32_e32 v19, 31, v18
	s_delay_alu instid0(VALU_DEP_1)
	v_lshl_add_u64 v[44:45], v[18:19], 4, v[36:37]
	s_branch .LBB2_129
.LBB2_128:                              ;   in Loop: Header=BB2_129 Depth=3
	s_or_b32 exec_lo, exec_lo, s8
	v_dual_lshlrev_b32 v5, 8, v62 :: v_dual_lshlrev_b32 v17, 8, v63
	v_dual_lshlrev_b32 v16, 16, v46 :: v_dual_lshlrev_b32 v18, 16, v72
	v_dual_lshlrev_b32 v54, 24, v47 :: v_dual_lshlrev_b32 v4, 24, v4
	v_sub_nc_u32_e32 v61, v61, v86
	s_delay_alu instid0(VALU_DEP_3) | instskip(NEXT) | instid1(VALU_DEP_4)
	v_or3_b32 v2, v5, v2, v16
	v_or3_b32 v5, v17, v19, v18
	v_add_nc_u64_e32 v[40:41], v[40:41], v[86:87]
	v_lshl_add_u64 v[16:17], v[118:119], 4, v[44:45]
	v_add_nc_u32_e32 v118, v118, v20
	v_or3_b32 v2, v2, v54, 0
	v_or3_b32 v4, v5, v4, 0
	v_mov_b32_e32 v5, v3
	v_cmp_gt_i32_e32 vcc_lo, 1, v61
	global_store_b128 v[16:17], v[2:5], off
	s_or_b32 s18, vcc_lo, s18
	s_wait_xcnt 0x0
	s_and_not1_b32 exec_lo, exec_lo, s18
	s_cbranch_execz .LBB2_393
.LBB2_129:                              ;   Parent Loop BB2_36 Depth=1
                                        ;     Parent Loop BB2_85 Depth=2
                                        ; =>    This Loop Header: Depth=3
                                        ;         Child Loop BB2_137 Depth 4
	s_delay_alu instid0(VALU_DEP_3)
	v_dual_mov_b32 v5, v41 :: v_dual_bitop2_b32 v4, -4, v40 bitop3:0x40
	v_min_u32_e32 v16, 8, v61
	v_dual_mov_b32 v63, 0 :: v_dual_bitop2_b32 v17, 3, v40 bitop3:0x40
	v_mov_b32_e32 v72, 0
	global_load_b32 v2, v[4:5], off th:TH_LOAD_NT
	s_mov_b32 s8, exec_lo
	v_add_nc_u32_e32 v54, v17, v16
	s_wait_xcnt 0x0
	s_delay_alu instid0(VALU_DEP_1)
	v_cmpx_lt_u32_e32 4, v54
	s_cbranch_execz .LBB2_131
; %bb.130:                              ;   in Loop: Header=BB2_129 Depth=3
	global_load_b32 v72, v[4:5], off offset:4 th:TH_LOAD_NT
.LBB2_131:                              ;   in Loop: Header=BB2_129 Depth=3
	s_wait_xcnt 0x0
	s_or_b32 exec_lo, exec_lo, s8
	s_delay_alu instid0(SALU_CYCLE_1)
	s_mov_b32 s8, exec_lo
	v_cmpx_lt_u64_e32 8, v[54:55]
	s_cbranch_execz .LBB2_133
; %bb.132:                              ;   in Loop: Header=BB2_129 Depth=3
	global_load_b32 v63, v[4:5], off offset:8 th:TH_LOAD_NT
.LBB2_133:                              ;   in Loop: Header=BB2_129 Depth=3
	s_wait_xcnt 0x0
	s_or_b32 exec_lo, exec_lo, s8
	v_ashrrev_i32_e32 v119, 31, v118
	s_mov_b32 s19, exec_lo
	s_delay_alu instid0(VALU_DEP_1)
	v_lshl_add_u64 v[4:5], v[118:119], 4, v[42:43]
	global_load_b128 v[16:19], v[4:5], off th:TH_LOAD_NT
	s_wait_xcnt 0x0
	v_cmpx_eq_u32_e32 0, v21
	s_cbranch_execz .LBB2_145
; %bb.134:                              ;   in Loop: Header=BB2_129 Depth=3
	s_wait_loadcnt 0x0
	v_cmp_ne_u32_e32 vcc_lo, v60, v17
	v_cmp_ne_u32_e64 s8, v60, v19
	v_mov_b32_e32 v21, 0
	s_or_b32 s8, vcc_lo, s8
	s_delay_alu instid0(SALU_CYCLE_1)
	s_and_saveexec_b32 s20, s8
	s_cbranch_execz .LBB2_144
; %bb.135:                              ;   in Loop: Header=BB2_129 Depth=3
	s_mov_b32 s24, 1
	s_mov_b32 s22, 0
                                        ; implicit-def: $sgpr21
                                        ; implicit-def: $sgpr23
	s_branch .LBB2_137
.LBB2_136:                              ;   in Loop: Header=BB2_137 Depth=4
	s_or_b32 exec_lo, exec_lo, s26
	s_delay_alu instid0(SALU_CYCLE_1) | instskip(NEXT) | instid1(SALU_CYCLE_1)
	s_and_b32 s8, exec_lo, s8
	s_or_b32 s22, s8, s22
	s_and_not1_b32 s8, s21, exec_lo
	s_and_b32 s21, s23, exec_lo
	s_delay_alu instid0(SALU_CYCLE_1)
	s_or_b32 s21, s8, s21
	s_and_not1_b32 exec_lo, exec_lo, s22
	s_cbranch_execz .LBB2_141
.LBB2_137:                              ;   Parent Loop BB2_36 Depth=1
                                        ;     Parent Loop BB2_85 Depth=2
                                        ;       Parent Loop BB2_129 Depth=3
                                        ; =>      This Inner Loop Header: Depth=4
	s_wait_loadcnt 0x0
	global_load_b128 v[16:19], v[4:5], off th:TH_LOAD_NT
	s_add_co_i32 s24, s24, 1
	s_mov_b32 s8, -1
	s_cmp_lg_u32 s24, 0x2710
	s_mov_b32 s25, -1
                                        ; implicit-def: $vgpr54
	s_cbranch_scc0 .LBB2_139
; %bb.138:                              ;   in Loop: Header=BB2_137 Depth=4
	s_or_b32 s23, s23, exec_lo
	s_wait_xcnt 0x0
	s_and_saveexec_b32 s26, s25
	s_cbranch_execz .LBB2_136
	s_branch .LBB2_140
.LBB2_139:                              ;   in Loop: Header=BB2_137 Depth=4
	s_trap 2
	ds_load_b64 v[46:47], v0
	s_mov_b32 s24, 0
	s_wait_storecnt 0x0
	s_wait_loadcnt_dscnt 0x0
	flat_load_b32 v54, v[46:47] scope:SCOPE_SYS
	s_wait_loadcnt_dscnt 0x0
	global_inv scope:SCOPE_SYS
	v_cmp_eq_u32_e32 vcc_lo, 0, v54
	s_or_not1_b32 s25, vcc_lo, exec_lo
	s_or_b32 s23, s23, exec_lo
	s_wait_xcnt 0x0
	s_and_saveexec_b32 s26, s25
	s_cbranch_execz .LBB2_136
.LBB2_140:                              ;   in Loop: Header=BB2_137 Depth=4
	s_wait_loadcnt 0x0
	v_cmp_eq_u32_e32 vcc_lo, v60, v17
	v_cmp_eq_u32_e64 s8, v60, v19
	s_and_not1_b32 s23, s23, exec_lo
	s_and_b32 s8, vcc_lo, s8
	s_delay_alu instid0(SALU_CYCLE_1)
	s_or_not1_b32 s8, s8, exec_lo
	s_branch .LBB2_136
.LBB2_141:                              ;   in Loop: Header=BB2_129 Depth=3
	s_or_b32 exec_lo, exec_lo, s22
	v_mov_b32_e32 v21, 0
	s_and_saveexec_b32 s8, s21
	s_delay_alu instid0(SALU_CYCLE_1)
	s_xor_b32 s8, exec_lo, s8
	s_cbranch_execz .LBB2_143
; %bb.142:                              ;   in Loop: Header=BB2_129 Depth=3
	v_mov_b32_e32 v21, 1
	s_wait_loadcnt 0x0
	s_wait_storecnt 0x0
	ds_store_b32 v0, v54
	s_trap 2
.LBB2_143:                              ;   in Loop: Header=BB2_129 Depth=3
	s_or_b32 exec_lo, exec_lo, s8
.LBB2_144:                              ;   in Loop: Header=BB2_129 Depth=3
	s_delay_alu instid0(SALU_CYCLE_1)
	s_or_b32 exec_lo, exec_lo, s20
.LBB2_145:                              ;   in Loop: Header=BB2_129 Depth=3
	s_delay_alu instid0(SALU_CYCLE_1) | instskip(SKIP_4) | instid1(VALU_DEP_2)
	s_or_b32 exec_lo, exec_lo, s19
	s_wait_loadcnt 0x0
	v_and_b32_e32 v54, 0xff, v16
	v_dual_mov_b32 v4, 0 :: v_dual_mov_b32 v5, 0
	s_mov_b32 s8, exec_lo
	v_cmpx_ne_u16_e32 0, v54
	s_cbranch_execz .LBB2_151
; %bb.146:                              ;   in Loop: Header=BB2_129 Depth=3
	v_bfrev_b32_e32 v5, 1
	s_mov_b32 s19, exec_lo
	v_cmpx_ne_u16_e32 0x80, v54
	s_cbranch_execz .LBB2_150
; %bb.147:                              ;   in Loop: Header=BB2_129 Depth=3
	v_and_b32_e32 v54, 0x7f, v16
	v_mov_b32_e32 v5, 0x7f800001
	s_mov_b32 s20, exec_lo
	s_delay_alu instid0(VALU_DEP_2)
	v_cmpx_ne_u32_e32 0x7f, v54
	s_cbranch_execz .LBB2_149
; %bb.148:                              ;   in Loop: Header=BB2_129 Depth=3
	v_dual_lshrrev_b32 v46, 3, v54 :: v_dual_bitop2_b32 v5, 7, v16 bitop3:0x40
	v_cmp_gt_u32_e32 vcc_lo, 8, v54
	s_delay_alu instid0(VALU_DEP_2) | instskip(NEXT) | instid1(VALU_DEP_1)
	v_clz_i32_u32_e32 v5, v5
	v_min_u32_e32 v5, 32, v5
	s_delay_alu instid0(VALU_DEP_1) | instskip(NEXT) | instid1(VALU_DEP_1)
	v_subrev_nc_u32_e32 v54, 28, v5
	v_dual_cndmask_b32 v54, 0, v54 :: v_dual_sub_nc_u32 v5, 29, v5
	s_delay_alu instid0(VALU_DEP_1) | instskip(NEXT) | instid1(VALU_DEP_2)
	v_cndmask_b32_e32 v5, v46, v5, vcc_lo
	v_lshlrev_b64_e32 v[46:47], v54, v[16:17]
	v_lshlrev_b32_e32 v54, 24, v16
	s_delay_alu instid0(VALU_DEP_1) | instskip(NEXT) | instid1(VALU_DEP_3)
	v_and_b32_e32 v54, 0x80000000, v54
	v_lshlrev_b32_e32 v17, 20, v46
	v_lshl_add_u32 v5, v5, 23, 0x3c000000
	s_delay_alu instid0(VALU_DEP_2) | instskip(NEXT) | instid1(VALU_DEP_1)
	v_and_b32_e32 v17, 0x700000, v17
	v_or3_b32 v5, v17, v54, v5
.LBB2_149:                              ;   in Loop: Header=BB2_129 Depth=3
	s_or_b32 exec_lo, exec_lo, s20
.LBB2_150:                              ;   in Loop: Header=BB2_129 Depth=3
	s_delay_alu instid0(SALU_CYCLE_1)
	s_or_b32 exec_lo, exec_lo, s19
.LBB2_151:                              ;   in Loop: Header=BB2_129 Depth=3
	s_delay_alu instid0(SALU_CYCLE_1) | instskip(SKIP_2) | instid1(VALU_DEP_1)
	s_or_b32 exec_lo, exec_lo, s8
	v_lshlrev_b32_e32 v73, 3, v40
	s_mov_b32 s8, exec_lo
	v_alignbit_b32 v54, v72, v2, v73
	s_delay_alu instid0(VALU_DEP_1) | instskip(NEXT) | instid1(VALU_DEP_1)
	v_and_b32_e32 v2, 0xff, v54
	v_cmpx_ne_u16_e32 0, v2
	s_cbranch_execz .LBB2_157
; %bb.152:                              ;   in Loop: Header=BB2_129 Depth=3
	v_bfrev_b32_e32 v4, 1
	s_mov_b32 s19, exec_lo
	v_cmpx_ne_u16_e32 0x80, v2
	s_cbranch_execz .LBB2_156
; %bb.153:                              ;   in Loop: Header=BB2_129 Depth=3
	v_and_b32_e32 v2, 0x7f, v54
	v_mov_b32_e32 v4, 0x7f800001
	s_mov_b32 s20, exec_lo
	s_delay_alu instid0(VALU_DEP_2)
	v_cmpx_ne_u32_e32 0x7f, v2
	s_cbranch_execz .LBB2_155
; %bb.154:                              ;   in Loop: Header=BB2_129 Depth=3
	v_and_b32_e32 v4, 7, v54
	v_lshrrev_b32_e32 v17, 3, v2
	v_cmp_gt_u32_e32 vcc_lo, 8, v2
	s_delay_alu instid0(VALU_DEP_3) | instskip(NEXT) | instid1(VALU_DEP_1)
	v_clz_i32_u32_e32 v2, v4
	v_min_u32_e32 v2, 32, v2
	s_delay_alu instid0(VALU_DEP_1) | instskip(NEXT) | instid1(VALU_DEP_1)
	v_subrev_nc_u32_e32 v4, 28, v2
	v_dual_sub_nc_u32 v2, 29, v2 :: v_dual_cndmask_b32 v4, 0, v4, vcc_lo
	s_delay_alu instid0(VALU_DEP_1) | instskip(SKIP_1) | instid1(VALU_DEP_3)
	v_cndmask_b32_e32 v2, v17, v2, vcc_lo
	v_lshlrev_b32_e32 v17, 24, v54
	v_lshlrev_b64_e32 v[46:47], v4, v[54:55]
	s_delay_alu instid0(VALU_DEP_3) | instskip(NEXT) | instid1(VALU_DEP_3)
	v_lshl_add_u32 v2, v2, 23, 0x3c000000
	v_and_b32_e32 v17, 0x80000000, v17
	s_delay_alu instid0(VALU_DEP_3) | instskip(NEXT) | instid1(VALU_DEP_1)
	v_lshlrev_b32_e32 v4, 20, v46
	v_and_b32_e32 v4, 0x700000, v4
	s_delay_alu instid0(VALU_DEP_1)
	v_or3_b32 v4, v4, v17, v2
.LBB2_155:                              ;   in Loop: Header=BB2_129 Depth=3
	s_or_b32 exec_lo, exec_lo, s20
.LBB2_156:                              ;   in Loop: Header=BB2_129 Depth=3
	s_delay_alu instid0(SALU_CYCLE_1)
	s_or_b32 exec_lo, exec_lo, s19
.LBB2_157:                              ;   in Loop: Header=BB2_129 Depth=3
	s_delay_alu instid0(SALU_CYCLE_1) | instskip(NEXT) | instid1(VALU_DEP_1)
	s_or_b32 exec_lo, exec_lo, s8
	v_dual_add_f32 v4, v5, v4 :: v_dual_mov_b32 v47, v55
                                        ; implicit-def: $vgpr2
	s_mov_b32 s8, exec_lo
	s_delay_alu instid0(VALU_DEP_1) | instskip(SKIP_1) | instid1(VALU_DEP_2)
	v_and_b32_e32 v46, 0x7f800000, v4
	v_lshrrev_b32_e32 v5, 24, v4
	v_cmpx_ne_u64_e32 0x7f800000, v[46:47]
	s_xor_b32 s19, exec_lo, s8
	s_cbranch_execz .LBB2_171
; %bb.158:                              ;   in Loop: Header=BB2_129 Depth=3
	v_and_b32_e32 v46, 0x7fffffff, v4
	v_mov_b32_e32 v47, v55
	v_and_b32_e32 v17, 0x80, v5
                                        ; implicit-def: $vgpr2
	s_mov_b32 s8, exec_lo
	s_delay_alu instid0(VALU_DEP_2)
	v_cmpx_gt_u64_e32 0x43e00001, v[46:47]
	s_xor_b32 s20, exec_lo, s8
	s_cbranch_execz .LBB2_168
; %bb.159:                              ;   in Loop: Header=BB2_129 Depth=3
	v_mov_b32_e32 v2, 0
	s_mov_b32 s21, exec_lo
	v_cmpx_ne_u32_e32 0, v4
	s_cbranch_execz .LBB2_167
; %bb.160:                              ;   in Loop: Header=BB2_129 Depth=3
	v_bfe_u32 v2, v4, 23, 8
	v_and_b32_e32 v46, 0x7fffff, v4
	s_mov_b32 s22, exec_lo
	s_delay_alu instid0(VALU_DEP_2) | instskip(SKIP_3) | instid1(VALU_DEP_1)
	v_sub_nc_u32_e32 v5, 0x79, v2
	v_cmp_gt_u32_e64 s8, 0x7a, v2
	v_cmp_eq_u32_e32 vcc_lo, 0, v2
	v_or_b32_e32 v47, 0x800000, v46
	v_dual_cndmask_b32 v5, 0, v5, s8 :: v_dual_cndmask_b32 v46, v47, v46, vcc_lo
	v_mov_b32_e32 v47, v55
	s_delay_alu instid0(VALU_DEP_2) | instskip(NEXT) | instid1(VALU_DEP_1)
	v_cndmask_b32_e64 v62, v5, 0x78, vcc_lo
	v_dual_add_nc_u32 v4, 20, v62 :: v_dual_add_nc_u32 v74, 19, v62
	s_delay_alu instid0(VALU_DEP_1) | instskip(NEXT) | instid1(VALU_DEP_2)
	v_lshlrev_b64_e64 v[4:5], v4, -1
	v_lshlrev_b64_e64 v[74:75], v74, 1
	s_delay_alu instid0(VALU_DEP_2) | instskip(NEXT) | instid1(VALU_DEP_3)
	v_bfi_b32 v77, v5, 0, 0
	v_bfi_b32 v76, v4, 0, v46
	v_lshrrev_b64 v[4:5], v62, v[46:47]
	s_delay_alu instid0(VALU_DEP_1) | instskip(NEXT) | instid1(VALU_DEP_3)
	v_mov_b64_e32 v[46:47], v[4:5]
	v_cmpx_eq_u64_e64 v[76:77], v[74:75]
; %bb.161:                              ;   in Loop: Header=BB2_129 Depth=3
	v_bfe_u32 v46, v4, 20, 1
	v_mov_b32_e32 v47, v55
	s_delay_alu instid0(VALU_DEP_1) | instskip(NEXT) | instid1(VALU_DEP_1)
	v_add_nc_u64_e32 v[46:47], v[4:5], v[46:47]
	v_add_nc_u64_e32 v[46:47], -1, v[46:47]
; %bb.162:                              ;   in Loop: Header=BB2_129 Depth=3
	s_or_b32 exec_lo, exec_lo, s22
	v_add_nc_u32_e32 v2, 0xffffff81, v2
	v_lshrrev_b32_e32 v5, 23, v4
	s_mov_b32 s8, exec_lo
	s_delay_alu instid0(VALU_DEP_2) | instskip(NEXT) | instid1(VALU_DEP_1)
	v_cndmask_b32_e64 v2, v2, 0xffffff82, vcc_lo
	v_add3_u32 v47, v62, v2, v5
	v_and_b32_e32 v2, 0xfffff, v46
	s_delay_alu instid0(VALU_DEP_2) | instskip(NEXT) | instid1(VALU_DEP_2)
	v_dual_mov_b32 v5, v55 :: v_dual_add_nc_u32 v46, 6, v47
	v_add_nc_u32_e32 v4, v2, v4
                                        ; implicit-def: $vgpr2
	s_delay_alu instid0(VALU_DEP_2)
	v_cmpx_ne_u32_e32 0, v46
	s_xor_b32 s8, exec_lo, s8
; %bb.163:                              ;   in Loop: Header=BB2_129 Depth=3
	s_delay_alu instid0(VALU_DEP_2) | instskip(SKIP_1) | instid1(VALU_DEP_1)
	v_cmp_lt_u64_e32 vcc_lo, 0xffffff, v[4:5]
	v_add_nc_u32_e32 v2, 7, v47
	v_cndmask_b32_e32 v2, v46, v2, vcc_lo
	v_cndmask_b32_e64 v46, 0, 1, vcc_lo
	s_delay_alu instid0(VALU_DEP_1)
	v_lshrrev_b64 v[4:5], v46, v[4:5]
; %bb.164:                              ;   in Loop: Header=BB2_129 Depth=3
	s_and_not1_saveexec_b32 s8, s8
; %bb.165:                              ;   in Loop: Header=BB2_129 Depth=3
	s_delay_alu instid0(VALU_DEP_1)
	v_bfe_u32 v2, v4, 23, 1
; %bb.166:                              ;   in Loop: Header=BB2_129 Depth=3
	s_or_b32 exec_lo, exec_lo, s8
	s_delay_alu instid0(VALU_DEP_2) | instskip(NEXT) | instid1(VALU_DEP_2)
	v_lshrrev_b64 v[4:5], 20, v[4:5]
	v_cmp_gt_i32_e32 vcc_lo, 16, v2
	v_min_i32_e32 v46, 15, v2
	v_cmp_eq_u32_e64 s8, 0, v2
	s_delay_alu instid0(VALU_DEP_2) | instskip(SKIP_1) | instid1(VALU_DEP_2)
	v_dual_cndmask_b32 v5, 0, v5 :: v_dual_lshlrev_b32 v46, 3, v46
	v_cndmask_b32_e32 v4, 7, v4, vcc_lo
	v_and_b32_e32 v46, 0xf8, v46
	s_delay_alu instid0(VALU_DEP_2) | instskip(NEXT) | instid1(VALU_DEP_2)
	v_cmp_eq_u64_e32 vcc_lo, 0, v[4:5]
	v_and_or_b32 v2, v4, 7, v46
	s_and_b32 s8, s8, vcc_lo
	s_delay_alu instid0(VALU_DEP_1) | instid1(SALU_CYCLE_1)
	v_cndmask_b32_e64 v2, v2, 0, s8
	s_delay_alu instid0(VALU_DEP_1)
	v_or_b32_e32 v2, v2, v17
.LBB2_167:                              ;   in Loop: Header=BB2_129 Depth=3
	s_or_b32 exec_lo, exec_lo, s21
                                        ; implicit-def: $vgpr17
.LBB2_168:                              ;   in Loop: Header=BB2_129 Depth=3
	s_and_not1_saveexec_b32 s8, s20
; %bb.169:                              ;   in Loop: Header=BB2_129 Depth=3
	v_or_b32_e32 v2, 0x7e, v17
; %bb.170:                              ;   in Loop: Header=BB2_129 Depth=3
	s_or_b32 exec_lo, exec_lo, s8
                                        ; implicit-def: $vgpr5
.LBB2_171:                              ;   in Loop: Header=BB2_129 Depth=3
	s_and_not1_saveexec_b32 s8, s19
; %bb.172:                              ;   in Loop: Header=BB2_129 Depth=3
	v_or_b32_e32 v2, 0x7f, v5
; %bb.173:                              ;   in Loop: Header=BB2_129 Depth=3
	s_or_b32 exec_lo, exec_lo, s8
	v_lshrrev_b16 v4, 8, v16
	v_dual_mov_b32 v17, 0 :: v_dual_mov_b32 v46, 0
	s_mov_b32 s8, exec_lo
	s_delay_alu instid0(VALU_DEP_2)
	v_cmpx_ne_u16_e32 0, v4
	s_cbranch_execz .LBB2_181
; %bb.174:                              ;   in Loop: Header=BB2_129 Depth=3
	v_bfrev_b32_e32 v46, 1
	s_mov_b32 s19, exec_lo
	v_cmpx_ne_u16_e32 0x80, v4
	s_cbranch_execz .LBB2_180
; %bb.175:                              ;   in Loop: Header=BB2_129 Depth=3
	v_and_b32_e32 v4, 0xffff, v4
	v_mov_b32_e32 v46, 0x7f800001
	s_mov_b32 s20, exec_lo
	s_delay_alu instid0(VALU_DEP_2) | instskip(NEXT) | instid1(VALU_DEP_1)
	v_and_b32_e32 v47, 0x7f, v4
	v_cmpx_ne_u32_e32 0x7f, v47
	s_cbranch_execz .LBB2_179
; %bb.176:                              ;   in Loop: Header=BB2_129 Depth=3
	v_dual_mov_b32 v5, v55 :: v_dual_bitop2_b32 v4, 7, v4 bitop3:0x40
	v_lshrrev_b32_e32 v46, 3, v47
	s_mov_b32 s21, exec_lo
	v_cmpx_gt_u32_e32 8, v47
; %bb.177:                              ;   in Loop: Header=BB2_129 Depth=3
	s_delay_alu instid0(VALU_DEP_3) | instskip(NEXT) | instid1(VALU_DEP_1)
	v_clz_i32_u32_e32 v46, v4
	v_min_u32_e32 v46, 32, v46
	s_delay_alu instid0(VALU_DEP_1) | instskip(NEXT) | instid1(VALU_DEP_1)
	v_subrev_nc_u32_e32 v47, 28, v46
	v_lshlrev_b64_e32 v[4:5], v47, v[4:5]
	s_delay_alu instid0(VALU_DEP_1)
	v_dual_sub_nc_u32 v46, 29, v46 :: v_dual_bitop2_b32 v4, 7, v4 bitop3:0x40
; %bb.178:                              ;   in Loop: Header=BB2_129 Depth=3
	s_or_b32 exec_lo, exec_lo, s21
	v_lshlrev_b32_e32 v5, 16, v16
	s_delay_alu instid0(VALU_DEP_2) | instskip(NEXT) | instid1(VALU_DEP_3)
	v_lshlrev_b32_e32 v4, 20, v4
	v_lshl_add_u32 v46, v46, 23, 0x3c000000
	s_delay_alu instid0(VALU_DEP_3) | instskip(NEXT) | instid1(VALU_DEP_1)
	v_and_b32_e32 v5, 0x80000000, v5
	v_or3_b32 v46, v4, v5, v46
.LBB2_179:                              ;   in Loop: Header=BB2_129 Depth=3
	s_or_b32 exec_lo, exec_lo, s20
.LBB2_180:                              ;   in Loop: Header=BB2_129 Depth=3
	s_delay_alu instid0(SALU_CYCLE_1)
	s_or_b32 exec_lo, exec_lo, s19
.LBB2_181:                              ;   in Loop: Header=BB2_129 Depth=3
	s_delay_alu instid0(SALU_CYCLE_1) | instskip(SKIP_2) | instid1(VALU_DEP_1)
	s_or_b32 exec_lo, exec_lo, s8
	v_lshrrev_b16 v4, 8, v54
	s_mov_b32 s8, exec_lo
	v_cmpx_ne_u16_e32 0, v4
	s_cbranch_execz .LBB2_189
; %bb.182:                              ;   in Loop: Header=BB2_129 Depth=3
	v_bfrev_b32_e32 v17, 1
	s_mov_b32 s19, exec_lo
	v_cmpx_ne_u16_e32 0x80, v4
	s_cbranch_execz .LBB2_188
; %bb.183:                              ;   in Loop: Header=BB2_129 Depth=3
	v_and_b32_e32 v4, 0xffff, v4
	v_mov_b32_e32 v17, 0x7f800001
	s_mov_b32 s20, exec_lo
	s_delay_alu instid0(VALU_DEP_2) | instskip(NEXT) | instid1(VALU_DEP_1)
	v_and_b32_e32 v47, 0x7f, v4
	v_cmpx_ne_u32_e32 0x7f, v47
	s_cbranch_execz .LBB2_187
; %bb.184:                              ;   in Loop: Header=BB2_129 Depth=3
	v_dual_mov_b32 v5, v55 :: v_dual_bitop2_b32 v4, 7, v4 bitop3:0x40
	v_lshrrev_b32_e32 v17, 3, v47
	s_mov_b32 s21, exec_lo
	v_cmpx_gt_u32_e32 8, v47
; %bb.185:                              ;   in Loop: Header=BB2_129 Depth=3
	s_delay_alu instid0(VALU_DEP_3) | instskip(NEXT) | instid1(VALU_DEP_1)
	v_clz_i32_u32_e32 v17, v4
	v_min_u32_e32 v17, 32, v17
	s_delay_alu instid0(VALU_DEP_1) | instskip(NEXT) | instid1(VALU_DEP_1)
	v_subrev_nc_u32_e32 v47, 28, v17
	v_lshlrev_b64_e32 v[4:5], v47, v[4:5]
	s_delay_alu instid0(VALU_DEP_1)
	v_dual_sub_nc_u32 v17, 29, v17 :: v_dual_bitop2_b32 v4, 7, v4 bitop3:0x40
; %bb.186:                              ;   in Loop: Header=BB2_129 Depth=3
	s_or_b32 exec_lo, exec_lo, s21
	s_delay_alu instid0(VALU_DEP_1) | instskip(NEXT) | instid1(VALU_DEP_2)
	v_dual_lshlrev_b32 v5, 16, v54 :: v_dual_lshlrev_b32 v4, 20, v4
	v_lshl_add_u32 v17, v17, 23, 0x3c000000
	s_delay_alu instid0(VALU_DEP_2) | instskip(NEXT) | instid1(VALU_DEP_1)
	v_and_b32_e32 v5, 0x80000000, v5
	v_or3_b32 v17, v4, v5, v17
.LBB2_187:                              ;   in Loop: Header=BB2_129 Depth=3
	s_or_b32 exec_lo, exec_lo, s20
.LBB2_188:                              ;   in Loop: Header=BB2_129 Depth=3
	s_delay_alu instid0(SALU_CYCLE_1)
	s_or_b32 exec_lo, exec_lo, s19
.LBB2_189:                              ;   in Loop: Header=BB2_129 Depth=3
	s_delay_alu instid0(SALU_CYCLE_1) | instskip(NEXT) | instid1(VALU_DEP_1)
	s_or_b32 exec_lo, exec_lo, s8
	v_dual_add_f32 v4, v46, v17 :: v_dual_mov_b32 v47, v55
                                        ; implicit-def: $vgpr62
	s_mov_b32 s8, exec_lo
	s_delay_alu instid0(VALU_DEP_1) | instskip(SKIP_1) | instid1(VALU_DEP_2)
	v_and_b32_e32 v46, 0x7f800000, v4
	v_lshrrev_b32_e32 v5, 24, v4
	v_cmpx_ne_u64_e32 0x7f800000, v[46:47]
	s_xor_b32 s19, exec_lo, s8
	s_cbranch_execz .LBB2_203
; %bb.190:                              ;   in Loop: Header=BB2_129 Depth=3
	v_and_b32_e32 v46, 0x7fffffff, v4
	v_mov_b32_e32 v47, v55
	v_and_b32_e32 v17, 0x80, v5
                                        ; implicit-def: $vgpr62
	s_mov_b32 s8, exec_lo
	s_delay_alu instid0(VALU_DEP_2)
	v_cmpx_gt_u64_e32 0x43e00001, v[46:47]
	s_xor_b32 s20, exec_lo, s8
	s_cbranch_execz .LBB2_200
; %bb.191:                              ;   in Loop: Header=BB2_129 Depth=3
	v_mov_b32_e32 v62, 0
	s_mov_b32 s21, exec_lo
	v_cmpx_ne_u32_e32 0, v4
	s_cbranch_execz .LBB2_199
; %bb.192:                              ;   in Loop: Header=BB2_129 Depth=3
	v_bfe_u32 v62, v4, 23, 8
	v_and_b32_e32 v46, 0x7fffff, v4
	s_mov_b32 s22, exec_lo
	s_delay_alu instid0(VALU_DEP_2) | instskip(SKIP_1) | instid1(VALU_DEP_3)
	v_sub_nc_u32_e32 v5, 0x79, v62
	v_cmp_gt_u32_e32 vcc_lo, 0x7a, v62
	v_or_b32_e32 v47, 0x800000, v46
	s_delay_alu instid0(VALU_DEP_3) | instskip(SKIP_1) | instid1(VALU_DEP_2)
	v_cndmask_b32_e32 v5, 0, v5, vcc_lo
	v_cmp_eq_u32_e32 vcc_lo, 0, v62
	v_cndmask_b32_e64 v74, v5, 0x78, vcc_lo
	s_delay_alu instid0(VALU_DEP_4) | instskip(NEXT) | instid1(VALU_DEP_2)
	v_cndmask_b32_e32 v46, v47, v46, vcc_lo
	v_dual_mov_b32 v47, v55 :: v_dual_add_nc_u32 v75, 19, v74
	v_add_nc_u32_e32 v4, 20, v74
	s_delay_alu instid0(VALU_DEP_2) | instskip(NEXT) | instid1(VALU_DEP_2)
	v_lshlrev_b64_e64 v[76:77], v75, 1
	v_lshlrev_b64_e64 v[4:5], v4, -1
	s_delay_alu instid0(VALU_DEP_1) | instskip(NEXT) | instid1(VALU_DEP_2)
	v_bfi_b32 v79, v5, 0, 0
	v_bfi_b32 v78, v4, 0, v46
	v_lshrrev_b64 v[4:5], v74, v[46:47]
	s_delay_alu instid0(VALU_DEP_1) | instskip(NEXT) | instid1(VALU_DEP_3)
	v_mov_b64_e32 v[46:47], v[4:5]
	v_cmpx_eq_u64_e64 v[78:79], v[76:77]
; %bb.193:                              ;   in Loop: Header=BB2_129 Depth=3
	v_bfe_u32 v46, v4, 20, 1
	v_mov_b32_e32 v47, v55
	s_delay_alu instid0(VALU_DEP_1) | instskip(NEXT) | instid1(VALU_DEP_1)
	v_add_nc_u64_e32 v[46:47], v[4:5], v[46:47]
	v_add_nc_u64_e32 v[46:47], -1, v[46:47]
; %bb.194:                              ;   in Loop: Header=BB2_129 Depth=3
	s_or_b32 exec_lo, exec_lo, s22
	v_add_nc_u32_e32 v5, 0xffffff81, v62
	v_lshrrev_b32_e32 v47, 23, v4
	s_mov_b32 s8, exec_lo
	s_delay_alu instid0(VALU_DEP_2) | instskip(NEXT) | instid1(VALU_DEP_1)
	v_cndmask_b32_e64 v5, v5, 0xffffff82, vcc_lo
	v_add3_u32 v47, v74, v5, v47
	v_and_b32_e32 v5, 0xfffff, v46
                                        ; implicit-def: $vgpr46
	s_delay_alu instid0(VALU_DEP_1) | instskip(SKIP_1) | instid1(VALU_DEP_2)
	v_dual_add_nc_u32 v62, 6, v47 :: v_dual_add_nc_u32 v4, v5, v4
	v_mov_b32_e32 v5, v55
	v_cmpx_ne_u32_e32 0, v62
	s_xor_b32 s8, exec_lo, s8
; %bb.195:                              ;   in Loop: Header=BB2_129 Depth=3
	s_delay_alu instid0(VALU_DEP_2) | instskip(SKIP_2) | instid1(VALU_DEP_2)
	v_cmp_lt_u64_e32 vcc_lo, 0xffffff, v[4:5]
	v_add_nc_u32_e32 v46, 7, v47
	v_cndmask_b32_e64 v47, 0, 1, vcc_lo
	v_cndmask_b32_e32 v46, v62, v46, vcc_lo
	s_delay_alu instid0(VALU_DEP_2)
	v_lshrrev_b64 v[4:5], v47, v[4:5]
; %bb.196:                              ;   in Loop: Header=BB2_129 Depth=3
	s_and_not1_saveexec_b32 s8, s8
; %bb.197:                              ;   in Loop: Header=BB2_129 Depth=3
	s_delay_alu instid0(VALU_DEP_1)
	v_bfe_u32 v46, v4, 23, 1
; %bb.198:                              ;   in Loop: Header=BB2_129 Depth=3
	s_or_b32 exec_lo, exec_lo, s8
	s_delay_alu instid0(VALU_DEP_2) | instskip(NEXT) | instid1(VALU_DEP_2)
	v_lshrrev_b64 v[4:5], 20, v[4:5]
	v_cmp_gt_i32_e32 vcc_lo, 16, v46
	v_min_i32_e32 v47, 15, v46
	v_cmp_eq_u32_e64 s8, 0, v46
	s_delay_alu instid0(VALU_DEP_2) | instskip(SKIP_1) | instid1(VALU_DEP_2)
	v_dual_cndmask_b32 v5, 0, v5, vcc_lo :: v_dual_lshlrev_b32 v47, 3, v47
	v_cndmask_b32_e32 v4, 7, v4, vcc_lo
	v_and_b32_e32 v47, 0xf8, v47
	s_delay_alu instid0(VALU_DEP_2) | instskip(NEXT) | instid1(VALU_DEP_2)
	v_cmp_eq_u64_e32 vcc_lo, 0, v[4:5]
	v_and_or_b32 v4, v4, 7, v47
	s_and_b32 s8, s8, vcc_lo
	s_delay_alu instid0(VALU_DEP_1) | instid1(SALU_CYCLE_1)
	v_cndmask_b32_e64 v4, v4, 0, s8
	s_delay_alu instid0(VALU_DEP_1)
	v_or_b32_e32 v62, v4, v17
.LBB2_199:                              ;   in Loop: Header=BB2_129 Depth=3
	s_or_b32 exec_lo, exec_lo, s21
                                        ; implicit-def: $vgpr17
.LBB2_200:                              ;   in Loop: Header=BB2_129 Depth=3
	s_and_not1_saveexec_b32 s8, s20
; %bb.201:                              ;   in Loop: Header=BB2_129 Depth=3
	v_or_b32_e32 v62, 0x7e, v17
; %bb.202:                              ;   in Loop: Header=BB2_129 Depth=3
	s_or_b32 exec_lo, exec_lo, s8
                                        ; implicit-def: $vgpr5
.LBB2_203:                              ;   in Loop: Header=BB2_129 Depth=3
	s_and_not1_saveexec_b32 s8, s19
; %bb.204:                              ;   in Loop: Header=BB2_129 Depth=3
	v_or_b32_e32 v62, 0x7f, v5
; %bb.205:                              ;   in Loop: Header=BB2_129 Depth=3
	s_or_b32 exec_lo, exec_lo, s8
	v_dual_lshrrev_b32 v47, 16, v16 :: v_dual_mov_b32 v17, 0
	v_mov_b32_e32 v46, 0
	s_mov_b32 s8, exec_lo
	s_delay_alu instid0(VALU_DEP_2) | instskip(NEXT) | instid1(VALU_DEP_1)
	v_and_b32_e32 v4, 0xff, v47
	v_cmpx_ne_u16_e32 0, v4
	s_cbranch_execz .LBB2_213
; %bb.206:                              ;   in Loop: Header=BB2_129 Depth=3
	v_bfrev_b32_e32 v46, 1
	s_mov_b32 s19, exec_lo
	v_cmpx_ne_u16_e32 0x80, v4
	s_cbranch_execz .LBB2_212
; %bb.207:                              ;   in Loop: Header=BB2_129 Depth=3
	v_bfe_u32 v74, v16, 16, 7
	v_mov_b32_e32 v46, 0x7f800001
	s_mov_b32 s20, exec_lo
	s_delay_alu instid0(VALU_DEP_2)
	v_cmpx_ne_u32_e32 0x7f, v74
	s_cbranch_execz .LBB2_211
; %bb.208:                              ;   in Loop: Header=BB2_129 Depth=3
	v_dual_mov_b32 v5, v55 :: v_dual_bitop2_b32 v4, 7, v47 bitop3:0x40
	v_lshrrev_b32_e32 v46, 3, v74
	s_mov_b32 s21, exec_lo
	v_cmpx_gt_u32_e32 8, v74
; %bb.209:                              ;   in Loop: Header=BB2_129 Depth=3
	s_delay_alu instid0(VALU_DEP_3) | instskip(NEXT) | instid1(VALU_DEP_1)
	v_clz_i32_u32_e32 v46, v4
	v_min_u32_e32 v46, 32, v46
	s_delay_alu instid0(VALU_DEP_1) | instskip(NEXT) | instid1(VALU_DEP_1)
	v_subrev_nc_u32_e32 v74, 28, v46
	v_lshlrev_b64_e32 v[4:5], v74, v[4:5]
	s_delay_alu instid0(VALU_DEP_1)
	v_dual_sub_nc_u32 v46, 29, v46 :: v_dual_bitop2_b32 v4, 7, v4 bitop3:0x40
; %bb.210:                              ;   in Loop: Header=BB2_129 Depth=3
	s_or_b32 exec_lo, exec_lo, s21
	s_delay_alu instid0(VALU_DEP_1) | instskip(NEXT) | instid1(VALU_DEP_2)
	v_dual_lshlrev_b32 v5, 24, v47 :: v_dual_lshlrev_b32 v4, 20, v4
	v_lshl_add_u32 v46, v46, 23, 0x3c000000
	s_delay_alu instid0(VALU_DEP_2) | instskip(NEXT) | instid1(VALU_DEP_1)
	v_and_b32_e32 v5, 0x80000000, v5
	v_or3_b32 v46, v4, v5, v46
.LBB2_211:                              ;   in Loop: Header=BB2_129 Depth=3
	s_or_b32 exec_lo, exec_lo, s20
.LBB2_212:                              ;   in Loop: Header=BB2_129 Depth=3
	s_delay_alu instid0(SALU_CYCLE_1)
	s_or_b32 exec_lo, exec_lo, s19
.LBB2_213:                              ;   in Loop: Header=BB2_129 Depth=3
	s_delay_alu instid0(SALU_CYCLE_1) | instskip(SKIP_2) | instid1(VALU_DEP_1)
	s_or_b32 exec_lo, exec_lo, s8
	v_lshrrev_b32_e32 v4, 16, v54
	s_mov_b32 s8, exec_lo
	v_and_b32_e32 v5, 0xff, v4
	s_delay_alu instid0(VALU_DEP_1)
	v_cmpx_ne_u16_e32 0, v5
	s_cbranch_execz .LBB2_221
; %bb.214:                              ;   in Loop: Header=BB2_129 Depth=3
	v_bfrev_b32_e32 v17, 1
	s_mov_b32 s19, exec_lo
	v_cmpx_ne_u16_e32 0x80, v5
	s_cbranch_execz .LBB2_220
; %bb.215:                              ;   in Loop: Header=BB2_129 Depth=3
	v_bfe_u32 v47, v54, 16, 7
	v_mov_b32_e32 v17, 0x7f800001
	s_mov_b32 s20, exec_lo
	s_delay_alu instid0(VALU_DEP_2)
	v_cmpx_ne_u32_e32 0x7f, v47
	s_cbranch_execz .LBB2_219
; %bb.216:                              ;   in Loop: Header=BB2_129 Depth=3
	v_dual_mov_b32 v5, v55 :: v_dual_bitop2_b32 v4, 7, v4 bitop3:0x40
	v_lshrrev_b32_e32 v17, 3, v47
	s_mov_b32 s21, exec_lo
	v_cmpx_gt_u32_e32 8, v47
; %bb.217:                              ;   in Loop: Header=BB2_129 Depth=3
	s_delay_alu instid0(VALU_DEP_3) | instskip(NEXT) | instid1(VALU_DEP_1)
	v_clz_i32_u32_e32 v17, v4
	v_min_u32_e32 v17, 32, v17
	s_delay_alu instid0(VALU_DEP_1) | instskip(NEXT) | instid1(VALU_DEP_1)
	v_subrev_nc_u32_e32 v47, 28, v17
	v_lshlrev_b64_e32 v[4:5], v47, v[4:5]
	s_delay_alu instid0(VALU_DEP_1)
	v_dual_sub_nc_u32 v17, 29, v17 :: v_dual_bitop2_b32 v4, 7, v4 bitop3:0x40
; %bb.218:                              ;   in Loop: Header=BB2_129 Depth=3
	s_or_b32 exec_lo, exec_lo, s21
	s_delay_alu instid0(VALU_DEP_1) | instskip(NEXT) | instid1(VALU_DEP_2)
	v_dual_lshlrev_b32 v5, 8, v54 :: v_dual_lshlrev_b32 v4, 20, v4
	v_lshl_add_u32 v17, v17, 23, 0x3c000000
	s_delay_alu instid0(VALU_DEP_2) | instskip(NEXT) | instid1(VALU_DEP_1)
	v_and_b32_e32 v5, 0x80000000, v5
	v_or3_b32 v17, v4, v5, v17
.LBB2_219:                              ;   in Loop: Header=BB2_129 Depth=3
	s_or_b32 exec_lo, exec_lo, s20
.LBB2_220:                              ;   in Loop: Header=BB2_129 Depth=3
	s_delay_alu instid0(SALU_CYCLE_1)
	s_or_b32 exec_lo, exec_lo, s19
.LBB2_221:                              ;   in Loop: Header=BB2_129 Depth=3
	s_delay_alu instid0(SALU_CYCLE_1) | instskip(NEXT) | instid1(VALU_DEP_1)
	s_or_b32 exec_lo, exec_lo, s8
	v_dual_add_f32 v4, v46, v17 :: v_dual_mov_b32 v47, v55
	s_delay_alu instid0(VALU_DEP_1) | instskip(SKIP_1) | instid1(VALU_DEP_2)
	v_and_b32_e32 v46, 0x7f800000, v4
	v_lshrrev_b32_e32 v5, 24, v4
	v_cmp_ne_u64_e32 vcc_lo, 0x7f800000, v[46:47]
                                        ; implicit-def: $vgpr46
	s_and_saveexec_b32 s8, vcc_lo
	s_delay_alu instid0(SALU_CYCLE_1)
	s_xor_b32 s19, exec_lo, s8
	s_cbranch_execz .LBB2_235
; %bb.222:                              ;   in Loop: Header=BB2_129 Depth=3
	v_and_b32_e32 v46, 0x7fffffff, v4
	v_mov_b32_e32 v47, v55
	v_and_b32_e32 v17, 0x80, v5
	s_delay_alu instid0(VALU_DEP_2) | instskip(SKIP_1) | instid1(SALU_CYCLE_1)
	v_cmp_gt_u64_e32 vcc_lo, 0x43e00001, v[46:47]
                                        ; implicit-def: $vgpr46
	s_and_saveexec_b32 s8, vcc_lo
	s_xor_b32 s20, exec_lo, s8
	s_cbranch_execz .LBB2_232
; %bb.223:                              ;   in Loop: Header=BB2_129 Depth=3
	v_mov_b32_e32 v46, 0
	s_mov_b32 s21, exec_lo
	v_cmpx_ne_u32_e32 0, v4
	s_cbranch_execz .LBB2_231
; %bb.224:                              ;   in Loop: Header=BB2_129 Depth=3
	v_bfe_u32 v74, v4, 23, 8
	v_and_b32_e32 v46, 0x7fffff, v4
	s_mov_b32 s22, exec_lo
	s_delay_alu instid0(VALU_DEP_2) | instskip(SKIP_1) | instid1(VALU_DEP_3)
	v_sub_nc_u32_e32 v5, 0x79, v74
	v_cmp_gt_u32_e32 vcc_lo, 0x7a, v74
	v_or_b32_e32 v47, 0x800000, v46
	s_delay_alu instid0(VALU_DEP_3) | instskip(SKIP_1) | instid1(VALU_DEP_2)
	v_cndmask_b32_e32 v5, 0, v5, vcc_lo
	v_cmp_eq_u32_e32 vcc_lo, 0, v74
	v_cndmask_b32_e64 v75, v5, 0x78, vcc_lo
	s_delay_alu instid0(VALU_DEP_4) | instskip(NEXT) | instid1(VALU_DEP_2)
	v_cndmask_b32_e32 v46, v47, v46, vcc_lo
	v_dual_mov_b32 v47, v55 :: v_dual_add_nc_u32 v4, 20, v75
	v_add_nc_u32_e32 v76, 19, v75
	s_delay_alu instid0(VALU_DEP_2) | instskip(NEXT) | instid1(VALU_DEP_2)
	v_lshlrev_b64_e64 v[4:5], v4, -1
	v_lshlrev_b64_e64 v[76:77], v76, 1
	s_delay_alu instid0(VALU_DEP_2) | instskip(NEXT) | instid1(VALU_DEP_3)
	v_bfi_b32 v79, v5, 0, 0
	v_bfi_b32 v78, v4, 0, v46
	v_lshrrev_b64 v[4:5], v75, v[46:47]
	s_delay_alu instid0(VALU_DEP_1) | instskip(NEXT) | instid1(VALU_DEP_3)
	v_mov_b64_e32 v[46:47], v[4:5]
	v_cmpx_eq_u64_e64 v[78:79], v[76:77]
; %bb.225:                              ;   in Loop: Header=BB2_129 Depth=3
	v_bfe_u32 v46, v4, 20, 1
	v_mov_b32_e32 v47, v55
	s_delay_alu instid0(VALU_DEP_1) | instskip(NEXT) | instid1(VALU_DEP_1)
	v_add_nc_u64_e32 v[46:47], v[4:5], v[46:47]
	v_add_nc_u64_e32 v[46:47], -1, v[46:47]
; %bb.226:                              ;   in Loop: Header=BB2_129 Depth=3
	s_or_b32 exec_lo, exec_lo, s22
	v_add_nc_u32_e32 v5, 0xffffff81, v74
	v_lshrrev_b32_e32 v47, 23, v4
	s_mov_b32 s8, exec_lo
	s_delay_alu instid0(VALU_DEP_2) | instskip(NEXT) | instid1(VALU_DEP_1)
	v_cndmask_b32_e64 v5, v5, 0xffffff82, vcc_lo
	v_add3_u32 v47, v75, v5, v47
	v_and_b32_e32 v5, 0xfffff, v46
                                        ; implicit-def: $vgpr46
	s_delay_alu instid0(VALU_DEP_1) | instskip(SKIP_1) | instid1(VALU_DEP_2)
	v_dual_add_nc_u32 v74, 6, v47 :: v_dual_add_nc_u32 v4, v5, v4
	v_mov_b32_e32 v5, v55
	v_cmpx_ne_u32_e32 0, v74
	s_xor_b32 s8, exec_lo, s8
; %bb.227:                              ;   in Loop: Header=BB2_129 Depth=3
	s_delay_alu instid0(VALU_DEP_2) | instskip(SKIP_2) | instid1(VALU_DEP_2)
	v_cmp_lt_u64_e32 vcc_lo, 0xffffff, v[4:5]
	v_add_nc_u32_e32 v46, 7, v47
	v_cndmask_b32_e64 v47, 0, 1, vcc_lo
	v_cndmask_b32_e32 v46, v74, v46, vcc_lo
	s_delay_alu instid0(VALU_DEP_2)
	v_lshrrev_b64 v[4:5], v47, v[4:5]
; %bb.228:                              ;   in Loop: Header=BB2_129 Depth=3
	s_and_not1_saveexec_b32 s8, s8
; %bb.229:                              ;   in Loop: Header=BB2_129 Depth=3
	s_delay_alu instid0(VALU_DEP_1)
	v_bfe_u32 v46, v4, 23, 1
; %bb.230:                              ;   in Loop: Header=BB2_129 Depth=3
	s_or_b32 exec_lo, exec_lo, s8
	s_delay_alu instid0(VALU_DEP_2) | instskip(NEXT) | instid1(VALU_DEP_2)
	v_lshrrev_b64 v[4:5], 20, v[4:5]
	v_cmp_gt_i32_e32 vcc_lo, 16, v46
	v_min_i32_e32 v47, 15, v46
	v_cmp_eq_u32_e64 s8, 0, v46
	s_delay_alu instid0(VALU_DEP_2) | instskip(SKIP_1) | instid1(VALU_DEP_2)
	v_dual_cndmask_b32 v5, 0, v5, vcc_lo :: v_dual_lshlrev_b32 v47, 3, v47
	v_cndmask_b32_e32 v4, 7, v4, vcc_lo
	v_and_b32_e32 v47, 0xf8, v47
	s_delay_alu instid0(VALU_DEP_2) | instskip(NEXT) | instid1(VALU_DEP_2)
	v_cmp_eq_u64_e32 vcc_lo, 0, v[4:5]
	v_and_or_b32 v4, v4, 7, v47
	s_and_b32 s8, s8, vcc_lo
	s_delay_alu instid0(VALU_DEP_1) | instid1(SALU_CYCLE_1)
	v_cndmask_b32_e64 v4, v4, 0, s8
	s_delay_alu instid0(VALU_DEP_1)
	v_or_b32_e32 v46, v4, v17
.LBB2_231:                              ;   in Loop: Header=BB2_129 Depth=3
	s_or_b32 exec_lo, exec_lo, s21
                                        ; implicit-def: $vgpr17
.LBB2_232:                              ;   in Loop: Header=BB2_129 Depth=3
	s_and_not1_saveexec_b32 s8, s20
; %bb.233:                              ;   in Loop: Header=BB2_129 Depth=3
	v_or_b32_e32 v46, 0x7e, v17
; %bb.234:                              ;   in Loop: Header=BB2_129 Depth=3
	s_or_b32 exec_lo, exec_lo, s8
                                        ; implicit-def: $vgpr5
.LBB2_235:                              ;   in Loop: Header=BB2_129 Depth=3
	s_and_not1_saveexec_b32 s8, s19
; %bb.236:                              ;   in Loop: Header=BB2_129 Depth=3
	v_or_b32_e32 v46, 0x7f, v5
; %bb.237:                              ;   in Loop: Header=BB2_129 Depth=3
	s_or_b32 exec_lo, exec_lo, s8
	v_dual_mov_b32 v17, 0 :: v_dual_mov_b32 v4, 0
	s_mov_b32 s8, exec_lo
	v_cmpx_lt_u32_e32 0xffffff, v16
	s_cbranch_execz .LBB2_245
; %bb.238:                              ;   in Loop: Header=BB2_129 Depth=3
	v_lshrrev_b32_e32 v47, 24, v16
	v_bfrev_b32_e32 v4, 1
	s_mov_b32 s19, exec_lo
	s_delay_alu instid0(VALU_DEP_2)
	v_cmpx_ne_u32_e32 0x80, v47
	s_cbranch_execz .LBB2_244
; %bb.239:                              ;   in Loop: Header=BB2_129 Depth=3
	v_bfe_u32 v74, v16, 24, 7
	v_mov_b32_e32 v4, 0x7f800001
	s_mov_b32 s20, exec_lo
	s_delay_alu instid0(VALU_DEP_2)
	v_cmpx_ne_u32_e32 0x7f, v74
	s_cbranch_execz .LBB2_243
; %bb.240:                              ;   in Loop: Header=BB2_129 Depth=3
	v_dual_mov_b32 v5, v55 :: v_dual_bitop2_b32 v4, 7, v47 bitop3:0x40
	v_lshrrev_b32_e32 v16, 3, v74
	s_mov_b32 s21, exec_lo
	v_cmpx_gt_u32_e32 8, v74
; %bb.241:                              ;   in Loop: Header=BB2_129 Depth=3
	s_delay_alu instid0(VALU_DEP_3) | instskip(NEXT) | instid1(VALU_DEP_1)
	v_clz_i32_u32_e32 v16, v4
	v_min_u32_e32 v16, 32, v16
	s_delay_alu instid0(VALU_DEP_1) | instskip(SKIP_1) | instid1(VALU_DEP_2)
	v_subrev_nc_u32_e32 v74, 28, v16
	v_sub_nc_u32_e32 v16, 29, v16
	v_lshlrev_b64_e32 v[4:5], v74, v[4:5]
	s_delay_alu instid0(VALU_DEP_1)
	v_and_b32_e32 v4, 7, v4
; %bb.242:                              ;   in Loop: Header=BB2_129 Depth=3
	s_or_b32 exec_lo, exec_lo, s21
	s_delay_alu instid0(VALU_DEP_1) | instskip(SKIP_1) | instid1(VALU_DEP_2)
	v_dual_lshlrev_b32 v5, 24, v47 :: v_dual_lshlrev_b32 v4, 20, v4
	v_lshl_add_u32 v16, v16, 23, 0x3c000000
	v_and_b32_e32 v5, 0x80000000, v5
	s_delay_alu instid0(VALU_DEP_1)
	v_or3_b32 v4, v4, v5, v16
.LBB2_243:                              ;   in Loop: Header=BB2_129 Depth=3
	s_or_b32 exec_lo, exec_lo, s20
.LBB2_244:                              ;   in Loop: Header=BB2_129 Depth=3
	s_delay_alu instid0(SALU_CYCLE_1)
	s_or_b32 exec_lo, exec_lo, s19
.LBB2_245:                              ;   in Loop: Header=BB2_129 Depth=3
	s_delay_alu instid0(SALU_CYCLE_1) | instskip(NEXT) | instid1(SALU_CYCLE_1)
	s_or_b32 exec_lo, exec_lo, s8
	s_mov_b32 s8, exec_lo
	v_cmpx_lt_u32_e32 0xffffff, v54
	s_cbranch_execz .LBB2_253
; %bb.246:                              ;   in Loop: Header=BB2_129 Depth=3
	v_lshrrev_b32_e32 v5, 24, v54
	v_bfrev_b32_e32 v17, 1
	s_mov_b32 s19, exec_lo
	s_delay_alu instid0(VALU_DEP_2)
	v_cmpx_ne_u32_e32 0x80, v5
	s_cbranch_execz .LBB2_252
; %bb.247:                              ;   in Loop: Header=BB2_129 Depth=3
	v_bfe_u32 v47, v54, 24, 7
	v_mov_b32_e32 v17, 0x7f800001
	s_mov_b32 s20, exec_lo
	s_delay_alu instid0(VALU_DEP_2)
	v_cmpx_ne_u32_e32 0x7f, v47
	s_cbranch_execz .LBB2_251
; %bb.248:                              ;   in Loop: Header=BB2_129 Depth=3
	v_dual_lshrrev_b32 v16, 3, v47 :: v_dual_bitop2_b32 v54, 7, v5 bitop3:0x40
	s_mov_b32 s21, exec_lo
	v_cmpx_gt_u32_e32 8, v47
; %bb.249:                              ;   in Loop: Header=BB2_129 Depth=3
	s_delay_alu instid0(VALU_DEP_2) | instskip(NEXT) | instid1(VALU_DEP_1)
	v_clz_i32_u32_e32 v16, v54
	v_min_u32_e32 v16, 32, v16
	s_delay_alu instid0(VALU_DEP_1) | instskip(NEXT) | instid1(VALU_DEP_1)
	v_subrev_nc_u32_e32 v17, 28, v16
	v_lshlrev_b64_e32 v[74:75], v17, v[54:55]
	s_delay_alu instid0(VALU_DEP_1)
	v_dual_sub_nc_u32 v16, 29, v16 :: v_dual_bitop2_b32 v54, 7, v74 bitop3:0x40
; %bb.250:                              ;   in Loop: Header=BB2_129 Depth=3
	s_or_b32 exec_lo, exec_lo, s21
	s_delay_alu instid0(VALU_DEP_1) | instskip(NEXT) | instid1(VALU_DEP_2)
	v_dual_lshlrev_b32 v5, 24, v5 :: v_dual_lshlrev_b32 v17, 20, v54
	v_lshl_add_u32 v16, v16, 23, 0x3c000000
	s_delay_alu instid0(VALU_DEP_2) | instskip(NEXT) | instid1(VALU_DEP_1)
	v_and_b32_e32 v5, 0x80000000, v5
	v_or3_b32 v17, v17, v5, v16
.LBB2_251:                              ;   in Loop: Header=BB2_129 Depth=3
	s_or_b32 exec_lo, exec_lo, s20
.LBB2_252:                              ;   in Loop: Header=BB2_129 Depth=3
	s_delay_alu instid0(SALU_CYCLE_1)
	s_or_b32 exec_lo, exec_lo, s19
.LBB2_253:                              ;   in Loop: Header=BB2_129 Depth=3
	s_delay_alu instid0(SALU_CYCLE_1) | instskip(NEXT) | instid1(VALU_DEP_1)
	s_or_b32 exec_lo, exec_lo, s8
	v_add_f32_e32 v4, v4, v17
                                        ; implicit-def: $vgpr47
	s_mov_b32 s8, exec_lo
	s_delay_alu instid0(VALU_DEP_1) | instskip(SKIP_1) | instid1(VALU_DEP_2)
	v_and_b32_e32 v54, 0x7f800000, v4
	v_lshrrev_b32_e32 v5, 24, v4
	v_cmpx_ne_u64_e32 0x7f800000, v[54:55]
	s_xor_b32 s19, exec_lo, s8
	s_cbranch_execz .LBB2_267
; %bb.254:                              ;   in Loop: Header=BB2_129 Depth=3
	v_and_b32_e32 v54, 0x7fffffff, v4
	v_and_b32_e32 v74, 0x80, v5
                                        ; implicit-def: $vgpr47
	s_mov_b32 s8, exec_lo
	s_delay_alu instid0(VALU_DEP_2)
	v_cmpx_gt_u64_e32 0x43e00001, v[54:55]
	s_xor_b32 s20, exec_lo, s8
	s_cbranch_execz .LBB2_264
; %bb.255:                              ;   in Loop: Header=BB2_129 Depth=3
	v_mov_b32_e32 v47, 0
	s_mov_b32 s21, exec_lo
	v_cmpx_ne_u32_e32 0, v4
	s_cbranch_execz .LBB2_263
; %bb.256:                              ;   in Loop: Header=BB2_129 Depth=3
	v_bfe_u32 v47, v4, 23, 8
	v_and_b32_e32 v16, 0x7fffff, v4
	s_delay_alu instid0(VALU_DEP_2) | instskip(NEXT) | instid1(VALU_DEP_2)
	v_cmp_gt_u32_e32 vcc_lo, 0x7a, v47
	v_or_b32_e32 v17, 0x800000, v16
	v_sub_nc_u32_e32 v5, 0x79, v47
	s_delay_alu instid0(VALU_DEP_1) | instskip(SKIP_1) | instid1(VALU_DEP_2)
	v_cndmask_b32_e32 v5, 0, v5, vcc_lo
	v_cmp_eq_u32_e32 vcc_lo, 0, v47
	v_cndmask_b32_e64 v75, v5, 0x78, vcc_lo
	s_delay_alu instid0(VALU_DEP_1) | instskip(SKIP_1) | instid1(VALU_DEP_2)
	v_dual_cndmask_b32 v54, v17, v16, vcc_lo :: v_dual_add_nc_u32 v4, 20, v75
	v_add_nc_u32_e32 v76, 19, v75
	v_lshlrev_b64_e64 v[4:5], v4, -1
	s_delay_alu instid0(VALU_DEP_2) | instskip(NEXT) | instid1(VALU_DEP_2)
	v_lshlrev_b64_e64 v[16:17], v76, 1
	v_bfi_b32 v77, v5, 0, 0
	s_delay_alu instid0(VALU_DEP_3) | instskip(SKIP_1) | instid1(VALU_DEP_2)
	v_bfi_b32 v76, v4, 0, v54
	v_lshrrev_b64 v[4:5], v75, v[54:55]
	v_cmp_eq_u64_e64 s8, v[76:77], v[16:17]
	s_delay_alu instid0(VALU_DEP_2)
	v_mov_b64_e32 v[16:17], v[4:5]
	s_and_saveexec_b32 s22, s8
; %bb.257:                              ;   in Loop: Header=BB2_129 Depth=3
	v_bfe_u32 v54, v4, 20, 1
	s_delay_alu instid0(VALU_DEP_1) | instskip(NEXT) | instid1(VALU_DEP_1)
	v_add_nc_u64_e32 v[16:17], v[4:5], v[54:55]
	v_add_nc_u64_e32 v[16:17], -1, v[16:17]
; %bb.258:                              ;   in Loop: Header=BB2_129 Depth=3
	s_or_b32 exec_lo, exec_lo, s22
	v_add_nc_u32_e32 v5, 0xffffff81, v47
	v_lshrrev_b32_e32 v17, 23, v4
	s_mov_b32 s8, exec_lo
	s_delay_alu instid0(VALU_DEP_2) | instskip(NEXT) | instid1(VALU_DEP_1)
	v_cndmask_b32_e64 v5, v5, 0xffffff82, vcc_lo
	v_add3_u32 v17, v75, v5, v17
	v_and_b32_e32 v5, 0xfffff, v16
                                        ; implicit-def: $vgpr16
	s_delay_alu instid0(VALU_DEP_1) | instskip(NEXT) | instid1(VALU_DEP_1)
	v_dual_add_nc_u32 v47, 6, v17 :: v_dual_add_nc_u32 v54, v5, v4
                                        ; implicit-def: $vgpr4_vgpr5
	v_cmpx_ne_u32_e32 0, v47
	s_xor_b32 s8, exec_lo, s8
; %bb.259:                              ;   in Loop: Header=BB2_129 Depth=3
	s_delay_alu instid0(VALU_DEP_2) | instskip(SKIP_1) | instid1(VALU_DEP_1)
	v_cmp_lt_u64_e32 vcc_lo, 0xffffff, v[54:55]
	v_add_nc_u32_e32 v4, 7, v17
	v_cndmask_b32_e32 v16, v47, v4, vcc_lo
	v_cndmask_b32_e64 v4, 0, 1, vcc_lo
	s_delay_alu instid0(VALU_DEP_1)
	v_lshrrev_b64 v[4:5], v4, v[54:55]
; %bb.260:                              ;   in Loop: Header=BB2_129 Depth=3
	s_and_not1_saveexec_b32 s8, s8
; %bb.261:                              ;   in Loop: Header=BB2_129 Depth=3
	v_mov_b64_e32 v[4:5], v[54:55]
	v_bfe_u32 v16, v54, 23, 1
; %bb.262:                              ;   in Loop: Header=BB2_129 Depth=3
	s_or_b32 exec_lo, exec_lo, s8
	s_delay_alu instid0(VALU_DEP_2) | instskip(NEXT) | instid1(VALU_DEP_2)
	v_lshrrev_b64 v[4:5], 20, v[4:5]
	v_cmp_gt_i32_e32 vcc_lo, 16, v16
	v_min_i32_e32 v17, 15, v16
	v_cmp_eq_u32_e64 s8, 0, v16
	s_delay_alu instid0(VALU_DEP_4) | instskip(NEXT) | instid1(VALU_DEP_3)
	v_cndmask_b32_e32 v5, 0, v5, vcc_lo
	v_dual_cndmask_b32 v4, 7, v4 :: v_dual_lshlrev_b32 v17, 3, v17
	s_delay_alu instid0(VALU_DEP_1) | instskip(NEXT) | instid1(VALU_DEP_2)
	v_and_b32_e32 v17, 0xf8, v17
	v_cmp_eq_u64_e32 vcc_lo, 0, v[4:5]
	s_delay_alu instid0(VALU_DEP_2)
	v_and_or_b32 v4, v4, 7, v17
	s_and_b32 s8, s8, vcc_lo
	s_delay_alu instid0(VALU_DEP_1) | instid1(SALU_CYCLE_1)
	v_cndmask_b32_e64 v4, v4, 0, s8
	s_delay_alu instid0(VALU_DEP_1)
	v_or_b32_e32 v47, v4, v74
.LBB2_263:                              ;   in Loop: Header=BB2_129 Depth=3
	s_or_b32 exec_lo, exec_lo, s21
                                        ; implicit-def: $vgpr74
.LBB2_264:                              ;   in Loop: Header=BB2_129 Depth=3
	s_and_not1_saveexec_b32 s8, s20
; %bb.265:                              ;   in Loop: Header=BB2_129 Depth=3
	v_or_b32_e32 v47, 0x7e, v74
; %bb.266:                              ;   in Loop: Header=BB2_129 Depth=3
	s_or_b32 exec_lo, exec_lo, s8
                                        ; implicit-def: $vgpr5
.LBB2_267:                              ;   in Loop: Header=BB2_129 Depth=3
	s_and_not1_saveexec_b32 s8, s19
; %bb.268:                              ;   in Loop: Header=BB2_129 Depth=3
	v_or_b32_e32 v47, 0x7f, v5
; %bb.269:                              ;   in Loop: Header=BB2_129 Depth=3
	s_or_b32 exec_lo, exec_lo, s8
	v_and_b32_e32 v16, 0xff, v18
	v_dual_mov_b32 v4, 0 :: v_dual_mov_b32 v5, 0
	s_mov_b32 s8, exec_lo
	s_delay_alu instid0(VALU_DEP_2)
	v_cmpx_ne_u16_e32 0, v16
	s_cbranch_execz .LBB2_275
; %bb.270:                              ;   in Loop: Header=BB2_129 Depth=3
	v_bfrev_b32_e32 v5, 1
	s_mov_b32 s19, exec_lo
	v_cmpx_ne_u16_e32 0x80, v16
	s_cbranch_execz .LBB2_274
; %bb.271:                              ;   in Loop: Header=BB2_129 Depth=3
	v_and_b32_e32 v16, 0x7f, v18
	v_mov_b32_e32 v5, 0x7f800001
	s_mov_b32 s20, exec_lo
	s_delay_alu instid0(VALU_DEP_2)
	v_cmpx_ne_u32_e32 0x7f, v16
	s_cbranch_execz .LBB2_273
; %bb.272:                              ;   in Loop: Header=BB2_129 Depth=3
	v_dual_lshrrev_b32 v17, 3, v16 :: v_dual_bitop2_b32 v5, 7, v18 bitop3:0x40
	v_cmp_gt_u32_e32 vcc_lo, 8, v16
	s_delay_alu instid0(VALU_DEP_2) | instskip(NEXT) | instid1(VALU_DEP_1)
	v_clz_i32_u32_e32 v5, v5
	v_min_u32_e32 v5, 32, v5
	s_delay_alu instid0(VALU_DEP_1) | instskip(NEXT) | instid1(VALU_DEP_1)
	v_subrev_nc_u32_e32 v54, 28, v5
	v_dual_cndmask_b32 v16, 0, v54 :: v_dual_sub_nc_u32 v5, 29, v5
	s_delay_alu instid0(VALU_DEP_1) | instskip(NEXT) | instid1(VALU_DEP_2)
	v_cndmask_b32_e32 v5, v17, v5, vcc_lo
	v_lshlrev_b64_e32 v[16:17], v16, v[18:19]
	v_lshlrev_b32_e32 v17, 24, v18
	s_delay_alu instid0(VALU_DEP_3) | instskip(NEXT) | instid1(VALU_DEP_2)
	v_lshl_add_u32 v5, v5, 23, 0x3c000000
	v_and_b32_e32 v17, 0x80000000, v17
	s_delay_alu instid0(VALU_DEP_4) | instskip(NEXT) | instid1(VALU_DEP_1)
	v_lshlrev_b32_e32 v16, 20, v16
	v_and_b32_e32 v16, 0x700000, v16
	s_delay_alu instid0(VALU_DEP_1)
	v_or3_b32 v5, v16, v17, v5
.LBB2_273:                              ;   in Loop: Header=BB2_129 Depth=3
	s_or_b32 exec_lo, exec_lo, s20
.LBB2_274:                              ;   in Loop: Header=BB2_129 Depth=3
	s_delay_alu instid0(SALU_CYCLE_1)
	s_or_b32 exec_lo, exec_lo, s19
.LBB2_275:                              ;   in Loop: Header=BB2_129 Depth=3
	s_delay_alu instid0(SALU_CYCLE_1) | instskip(SKIP_2) | instid1(VALU_DEP_1)
	s_or_b32 exec_lo, exec_lo, s8
	v_alignbit_b32 v54, v63, v72, v73
	s_mov_b32 s8, exec_lo
	v_and_b32_e32 v16, 0xff, v54
	s_delay_alu instid0(VALU_DEP_1)
	v_cmpx_ne_u16_e32 0, v16
	s_cbranch_execz .LBB2_281
; %bb.276:                              ;   in Loop: Header=BB2_129 Depth=3
	v_bfrev_b32_e32 v4, 1
	s_mov_b32 s19, exec_lo
	v_cmpx_ne_u16_e32 0x80, v16
	s_cbranch_execz .LBB2_280
; %bb.277:                              ;   in Loop: Header=BB2_129 Depth=3
	v_and_b32_e32 v16, 0x7f, v54
	v_mov_b32_e32 v4, 0x7f800001
	s_mov_b32 s20, exec_lo
	s_delay_alu instid0(VALU_DEP_2)
	v_cmpx_ne_u32_e32 0x7f, v16
	s_cbranch_execz .LBB2_279
; %bb.278:                              ;   in Loop: Header=BB2_129 Depth=3
	v_dual_lshrrev_b32 v17, 3, v16 :: v_dual_bitop2_b32 v4, 7, v54 bitop3:0x40
	v_cmp_gt_u32_e32 vcc_lo, 8, v16
	s_delay_alu instid0(VALU_DEP_2) | instskip(NEXT) | instid1(VALU_DEP_1)
	v_clz_i32_u32_e32 v4, v4
	v_min_u32_e32 v4, 32, v4
	s_delay_alu instid0(VALU_DEP_1) | instskip(NEXT) | instid1(VALU_DEP_1)
	v_subrev_nc_u32_e32 v19, 28, v4
	v_dual_sub_nc_u32 v4, 29, v4 :: v_dual_cndmask_b32 v16, 0, v19, vcc_lo
	s_delay_alu instid0(VALU_DEP_1) | instskip(NEXT) | instid1(VALU_DEP_2)
	v_cndmask_b32_e32 v4, v17, v4, vcc_lo
	v_lshlrev_b64_e32 v[16:17], v16, v[54:55]
	v_lshlrev_b32_e32 v17, 24, v54
	s_delay_alu instid0(VALU_DEP_3) | instskip(NEXT) | instid1(VALU_DEP_2)
	v_lshl_add_u32 v4, v4, 23, 0x3c000000
	v_and_b32_e32 v17, 0x80000000, v17
	s_delay_alu instid0(VALU_DEP_4) | instskip(NEXT) | instid1(VALU_DEP_1)
	v_lshlrev_b32_e32 v16, 20, v16
	v_and_b32_e32 v16, 0x700000, v16
	s_delay_alu instid0(VALU_DEP_1)
	v_or3_b32 v4, v16, v17, v4
.LBB2_279:                              ;   in Loop: Header=BB2_129 Depth=3
	s_or_b32 exec_lo, exec_lo, s20
.LBB2_280:                              ;   in Loop: Header=BB2_129 Depth=3
	s_delay_alu instid0(SALU_CYCLE_1)
	s_or_b32 exec_lo, exec_lo, s19
.LBB2_281:                              ;   in Loop: Header=BB2_129 Depth=3
	s_delay_alu instid0(SALU_CYCLE_1) | instskip(NEXT) | instid1(VALU_DEP_1)
	s_or_b32 exec_lo, exec_lo, s8
	v_dual_add_f32 v4, v5, v4 :: v_dual_mov_b32 v17, v55
                                        ; implicit-def: $vgpr19
	s_mov_b32 s8, exec_lo
	s_delay_alu instid0(VALU_DEP_1) | instskip(SKIP_1) | instid1(VALU_DEP_2)
	v_and_b32_e32 v16, 0x7f800000, v4
	v_lshrrev_b32_e32 v5, 24, v4
	v_cmpx_ne_u64_e32 0x7f800000, v[16:17]
	s_xor_b32 s19, exec_lo, s8
	s_cbranch_execz .LBB2_295
; %bb.282:                              ;   in Loop: Header=BB2_129 Depth=3
	v_and_b32_e32 v16, 0x7fffffff, v4
	v_mov_b32_e32 v17, v55
	v_and_b32_e32 v63, 0x80, v5
                                        ; implicit-def: $vgpr19
	s_mov_b32 s8, exec_lo
	s_delay_alu instid0(VALU_DEP_2)
	v_cmpx_gt_u64_e32 0x43e00001, v[16:17]
	s_xor_b32 s20, exec_lo, s8
	s_cbranch_execz .LBB2_292
; %bb.283:                              ;   in Loop: Header=BB2_129 Depth=3
	v_mov_b32_e32 v19, 0
	s_mov_b32 s21, exec_lo
	v_cmpx_ne_u32_e32 0, v4
	s_cbranch_execz .LBB2_291
; %bb.284:                              ;   in Loop: Header=BB2_129 Depth=3
	v_bfe_u32 v19, v4, 23, 8
	v_and_b32_e32 v16, 0x7fffff, v4
	s_mov_b32 s22, exec_lo
	s_delay_alu instid0(VALU_DEP_2) | instskip(NEXT) | instid1(VALU_DEP_2)
	v_cmp_gt_u32_e32 vcc_lo, 0x7a, v19
	v_or_b32_e32 v17, 0x800000, v16
	v_sub_nc_u32_e32 v5, 0x79, v19
	s_delay_alu instid0(VALU_DEP_1) | instskip(SKIP_1) | instid1(VALU_DEP_2)
	v_cndmask_b32_e32 v5, 0, v5, vcc_lo
	v_cmp_eq_u32_e32 vcc_lo, 0, v19
	v_cndmask_b32_e64 v72, v5, 0x78, vcc_lo
	v_dual_cndmask_b32 v16, v17, v16 :: v_dual_mov_b32 v17, v55
	s_delay_alu instid0(VALU_DEP_2) | instskip(NEXT) | instid1(VALU_DEP_1)
	v_dual_add_nc_u32 v73, 19, v72 :: v_dual_add_nc_u32 v4, 20, v72
	v_lshlrev_b64_e64 v[74:75], v73, 1
	s_delay_alu instid0(VALU_DEP_2) | instskip(NEXT) | instid1(VALU_DEP_1)
	v_lshlrev_b64_e64 v[4:5], v4, -1
	v_bfi_b32 v77, v5, 0, 0
	s_delay_alu instid0(VALU_DEP_2) | instskip(SKIP_1) | instid1(VALU_DEP_1)
	v_bfi_b32 v76, v4, 0, v16
	v_lshrrev_b64 v[4:5], v72, v[16:17]
	v_mov_b64_e32 v[16:17], v[4:5]
	s_delay_alu instid0(VALU_DEP_3)
	v_cmpx_eq_u64_e64 v[76:77], v[74:75]
; %bb.285:                              ;   in Loop: Header=BB2_129 Depth=3
	v_bfe_u32 v16, v4, 20, 1
	v_mov_b32_e32 v17, v55
	s_delay_alu instid0(VALU_DEP_1) | instskip(NEXT) | instid1(VALU_DEP_1)
	v_add_nc_u64_e32 v[16:17], v[4:5], v[16:17]
	v_add_nc_u64_e32 v[16:17], -1, v[16:17]
; %bb.286:                              ;   in Loop: Header=BB2_129 Depth=3
	s_or_b32 exec_lo, exec_lo, s22
	v_add_nc_u32_e32 v5, 0xffffff81, v19
	v_lshrrev_b32_e32 v17, 23, v4
	s_mov_b32 s8, exec_lo
	s_delay_alu instid0(VALU_DEP_2) | instskip(NEXT) | instid1(VALU_DEP_1)
	v_cndmask_b32_e64 v5, v5, 0xffffff82, vcc_lo
	v_add3_u32 v17, v72, v5, v17
	v_and_b32_e32 v5, 0xfffff, v16
                                        ; implicit-def: $vgpr16
	s_delay_alu instid0(VALU_DEP_1) | instskip(SKIP_1) | instid1(VALU_DEP_2)
	v_dual_add_nc_u32 v19, 6, v17 :: v_dual_add_nc_u32 v4, v5, v4
	v_mov_b32_e32 v5, v55
	v_cmpx_ne_u32_e32 0, v19
	s_xor_b32 s8, exec_lo, s8
; %bb.287:                              ;   in Loop: Header=BB2_129 Depth=3
	s_delay_alu instid0(VALU_DEP_2) | instskip(SKIP_2) | instid1(VALU_DEP_2)
	v_cmp_lt_u64_e32 vcc_lo, 0xffffff, v[4:5]
	v_add_nc_u32_e32 v16, 7, v17
	v_cndmask_b32_e64 v17, 0, 1, vcc_lo
	v_cndmask_b32_e32 v16, v19, v16, vcc_lo
	s_delay_alu instid0(VALU_DEP_2)
	v_lshrrev_b64 v[4:5], v17, v[4:5]
; %bb.288:                              ;   in Loop: Header=BB2_129 Depth=3
	s_and_not1_saveexec_b32 s8, s8
; %bb.289:                              ;   in Loop: Header=BB2_129 Depth=3
	s_delay_alu instid0(VALU_DEP_1)
	v_bfe_u32 v16, v4, 23, 1
; %bb.290:                              ;   in Loop: Header=BB2_129 Depth=3
	s_or_b32 exec_lo, exec_lo, s8
	s_delay_alu instid0(VALU_DEP_2) | instskip(NEXT) | instid1(VALU_DEP_2)
	v_lshrrev_b64 v[4:5], 20, v[4:5]
	v_cmp_gt_i32_e32 vcc_lo, 16, v16
	v_min_i32_e32 v17, 15, v16
	v_cmp_eq_u32_e64 s8, 0, v16
	s_delay_alu instid0(VALU_DEP_4) | instskip(NEXT) | instid1(VALU_DEP_3)
	v_cndmask_b32_e32 v5, 0, v5, vcc_lo
	v_dual_cndmask_b32 v4, 7, v4 :: v_dual_lshlrev_b32 v17, 3, v17
	s_delay_alu instid0(VALU_DEP_1) | instskip(NEXT) | instid1(VALU_DEP_2)
	v_and_b32_e32 v17, 0xf8, v17
	v_cmp_eq_u64_e32 vcc_lo, 0, v[4:5]
	s_delay_alu instid0(VALU_DEP_2)
	v_and_or_b32 v4, v4, 7, v17
	s_and_b32 s8, s8, vcc_lo
	s_delay_alu instid0(VALU_DEP_1) | instid1(SALU_CYCLE_1)
	v_cndmask_b32_e64 v4, v4, 0, s8
	s_delay_alu instid0(VALU_DEP_1)
	v_or_b32_e32 v19, v4, v63
.LBB2_291:                              ;   in Loop: Header=BB2_129 Depth=3
	s_or_b32 exec_lo, exec_lo, s21
                                        ; implicit-def: $vgpr63
.LBB2_292:                              ;   in Loop: Header=BB2_129 Depth=3
	s_and_not1_saveexec_b32 s8, s20
; %bb.293:                              ;   in Loop: Header=BB2_129 Depth=3
	v_or_b32_e32 v19, 0x7e, v63
; %bb.294:                              ;   in Loop: Header=BB2_129 Depth=3
	s_or_b32 exec_lo, exec_lo, s8
                                        ; implicit-def: $vgpr5
.LBB2_295:                              ;   in Loop: Header=BB2_129 Depth=3
	s_and_not1_saveexec_b32 s8, s19
; %bb.296:                              ;   in Loop: Header=BB2_129 Depth=3
	v_or_b32_e32 v19, 0x7f, v5
; %bb.297:                              ;   in Loop: Header=BB2_129 Depth=3
	s_or_b32 exec_lo, exec_lo, s8
	v_lshrrev_b16 v4, 8, v18
	v_dual_mov_b32 v16, 0 :: v_dual_mov_b32 v17, 0
	s_mov_b32 s8, exec_lo
	s_delay_alu instid0(VALU_DEP_2)
	v_cmpx_ne_u16_e32 0, v4
	s_cbranch_execz .LBB2_305
; %bb.298:                              ;   in Loop: Header=BB2_129 Depth=3
	v_bfrev_b32_e32 v17, 1
	s_mov_b32 s19, exec_lo
	v_cmpx_ne_u16_e32 0x80, v4
	s_cbranch_execz .LBB2_304
; %bb.299:                              ;   in Loop: Header=BB2_129 Depth=3
	v_and_b32_e32 v4, 0xffff, v4
	v_mov_b32_e32 v17, 0x7f800001
	s_mov_b32 s20, exec_lo
	s_delay_alu instid0(VALU_DEP_2) | instskip(NEXT) | instid1(VALU_DEP_1)
	v_and_b32_e32 v63, 0x7f, v4
	v_cmpx_ne_u32_e32 0x7f, v63
	s_cbranch_execz .LBB2_303
; %bb.300:                              ;   in Loop: Header=BB2_129 Depth=3
	v_dual_mov_b32 v5, v55 :: v_dual_bitop2_b32 v4, 7, v4 bitop3:0x40
	v_lshrrev_b32_e32 v17, 3, v63
	s_mov_b32 s21, exec_lo
	v_cmpx_gt_u32_e32 8, v63
; %bb.301:                              ;   in Loop: Header=BB2_129 Depth=3
	s_delay_alu instid0(VALU_DEP_3) | instskip(NEXT) | instid1(VALU_DEP_1)
	v_clz_i32_u32_e32 v17, v4
	v_min_u32_e32 v17, 32, v17
	s_delay_alu instid0(VALU_DEP_1) | instskip(NEXT) | instid1(VALU_DEP_1)
	v_subrev_nc_u32_e32 v63, 28, v17
	v_lshlrev_b64_e32 v[4:5], v63, v[4:5]
	s_delay_alu instid0(VALU_DEP_1)
	v_dual_sub_nc_u32 v17, 29, v17 :: v_dual_bitop2_b32 v4, 7, v4 bitop3:0x40
; %bb.302:                              ;   in Loop: Header=BB2_129 Depth=3
	s_or_b32 exec_lo, exec_lo, s21
	s_delay_alu instid0(VALU_DEP_1) | instskip(NEXT) | instid1(VALU_DEP_2)
	v_dual_lshlrev_b32 v5, 16, v18 :: v_dual_lshlrev_b32 v4, 20, v4
	v_lshl_add_u32 v17, v17, 23, 0x3c000000
	s_delay_alu instid0(VALU_DEP_2) | instskip(NEXT) | instid1(VALU_DEP_1)
	v_and_b32_e32 v5, 0x80000000, v5
	v_or3_b32 v17, v4, v5, v17
.LBB2_303:                              ;   in Loop: Header=BB2_129 Depth=3
	s_or_b32 exec_lo, exec_lo, s20
.LBB2_304:                              ;   in Loop: Header=BB2_129 Depth=3
	s_delay_alu instid0(SALU_CYCLE_1)
	s_or_b32 exec_lo, exec_lo, s19
.LBB2_305:                              ;   in Loop: Header=BB2_129 Depth=3
	s_delay_alu instid0(SALU_CYCLE_1) | instskip(SKIP_2) | instid1(VALU_DEP_1)
	s_or_b32 exec_lo, exec_lo, s8
	v_lshrrev_b16 v4, 8, v54
	s_mov_b32 s8, exec_lo
	v_cmpx_ne_u16_e32 0, v4
	s_cbranch_execz .LBB2_313
; %bb.306:                              ;   in Loop: Header=BB2_129 Depth=3
	v_bfrev_b32_e32 v16, 1
	s_mov_b32 s19, exec_lo
	v_cmpx_ne_u16_e32 0x80, v4
	s_cbranch_execz .LBB2_312
; %bb.307:                              ;   in Loop: Header=BB2_129 Depth=3
	v_and_b32_e32 v4, 0xffff, v4
	v_mov_b32_e32 v16, 0x7f800001
	s_mov_b32 s20, exec_lo
	s_delay_alu instid0(VALU_DEP_2) | instskip(NEXT) | instid1(VALU_DEP_1)
	v_and_b32_e32 v63, 0x7f, v4
	v_cmpx_ne_u32_e32 0x7f, v63
	s_cbranch_execz .LBB2_311
; %bb.308:                              ;   in Loop: Header=BB2_129 Depth=3
	v_dual_mov_b32 v5, v55 :: v_dual_bitop2_b32 v4, 7, v4 bitop3:0x40
	v_lshrrev_b32_e32 v16, 3, v63
	s_mov_b32 s21, exec_lo
	v_cmpx_gt_u32_e32 8, v63
; %bb.309:                              ;   in Loop: Header=BB2_129 Depth=3
	s_delay_alu instid0(VALU_DEP_3) | instskip(NEXT) | instid1(VALU_DEP_1)
	v_clz_i32_u32_e32 v16, v4
	v_min_u32_e32 v16, 32, v16
	s_delay_alu instid0(VALU_DEP_1) | instskip(SKIP_1) | instid1(VALU_DEP_2)
	v_subrev_nc_u32_e32 v63, 28, v16
	v_sub_nc_u32_e32 v16, 29, v16
	v_lshlrev_b64_e32 v[4:5], v63, v[4:5]
	s_delay_alu instid0(VALU_DEP_1)
	v_and_b32_e32 v4, 7, v4
; %bb.310:                              ;   in Loop: Header=BB2_129 Depth=3
	s_or_b32 exec_lo, exec_lo, s21
	s_delay_alu instid0(VALU_DEP_1) | instskip(SKIP_1) | instid1(VALU_DEP_2)
	v_dual_lshlrev_b32 v5, 16, v54 :: v_dual_lshlrev_b32 v4, 20, v4
	v_lshl_add_u32 v16, v16, 23, 0x3c000000
	v_and_b32_e32 v5, 0x80000000, v5
	s_delay_alu instid0(VALU_DEP_1)
	v_or3_b32 v16, v4, v5, v16
.LBB2_311:                              ;   in Loop: Header=BB2_129 Depth=3
	s_or_b32 exec_lo, exec_lo, s20
.LBB2_312:                              ;   in Loop: Header=BB2_129 Depth=3
	s_delay_alu instid0(SALU_CYCLE_1)
	s_or_b32 exec_lo, exec_lo, s19
.LBB2_313:                              ;   in Loop: Header=BB2_129 Depth=3
	s_delay_alu instid0(SALU_CYCLE_1) | instskip(NEXT) | instid1(VALU_DEP_1)
	s_or_b32 exec_lo, exec_lo, s8
	v_dual_add_f32 v4, v17, v16 :: v_dual_mov_b32 v17, v55
                                        ; implicit-def: $vgpr63
	s_mov_b32 s8, exec_lo
	s_delay_alu instid0(VALU_DEP_1) | instskip(SKIP_1) | instid1(VALU_DEP_2)
	v_and_b32_e32 v16, 0x7f800000, v4
	v_lshrrev_b32_e32 v5, 24, v4
	v_cmpx_ne_u64_e32 0x7f800000, v[16:17]
	s_xor_b32 s19, exec_lo, s8
	s_cbranch_execz .LBB2_327
; %bb.314:                              ;   in Loop: Header=BB2_129 Depth=3
	v_and_b32_e32 v16, 0x7fffffff, v4
	v_mov_b32_e32 v17, v55
	v_and_b32_e32 v72, 0x80, v5
                                        ; implicit-def: $vgpr63
	s_mov_b32 s8, exec_lo
	s_delay_alu instid0(VALU_DEP_2)
	v_cmpx_gt_u64_e32 0x43e00001, v[16:17]
	s_xor_b32 s20, exec_lo, s8
	s_cbranch_execz .LBB2_324
; %bb.315:                              ;   in Loop: Header=BB2_129 Depth=3
	v_mov_b32_e32 v63, 0
	s_mov_b32 s21, exec_lo
	v_cmpx_ne_u32_e32 0, v4
	s_cbranch_execz .LBB2_323
; %bb.316:                              ;   in Loop: Header=BB2_129 Depth=3
	v_bfe_u32 v63, v4, 23, 8
	v_and_b32_e32 v16, 0x7fffff, v4
	s_mov_b32 s22, exec_lo
	s_delay_alu instid0(VALU_DEP_2) | instskip(NEXT) | instid1(VALU_DEP_2)
	v_cmp_gt_u32_e32 vcc_lo, 0x7a, v63
	v_or_b32_e32 v17, 0x800000, v16
	v_sub_nc_u32_e32 v5, 0x79, v63
	s_delay_alu instid0(VALU_DEP_1) | instskip(SKIP_1) | instid1(VALU_DEP_4)
	v_cndmask_b32_e32 v5, 0, v5, vcc_lo
	v_cmp_eq_u32_e32 vcc_lo, 0, v63
	v_dual_cndmask_b32 v16, v17, v16 :: v_dual_mov_b32 v17, v55
	s_delay_alu instid0(VALU_DEP_3) | instskip(NEXT) | instid1(VALU_DEP_1)
	v_cndmask_b32_e64 v73, v5, 0x78, vcc_lo
	v_dual_add_nc_u32 v4, 20, v73 :: v_dual_add_nc_u32 v74, 19, v73
	s_delay_alu instid0(VALU_DEP_1) | instskip(NEXT) | instid1(VALU_DEP_2)
	v_lshlrev_b64_e64 v[4:5], v4, -1
	v_lshlrev_b64_e64 v[74:75], v74, 1
	s_delay_alu instid0(VALU_DEP_2) | instskip(NEXT) | instid1(VALU_DEP_3)
	v_bfi_b32 v77, v5, 0, 0
	v_bfi_b32 v76, v4, 0, v16
	v_lshrrev_b64 v[4:5], v73, v[16:17]
	s_delay_alu instid0(VALU_DEP_1) | instskip(NEXT) | instid1(VALU_DEP_3)
	v_mov_b64_e32 v[16:17], v[4:5]
	v_cmpx_eq_u64_e64 v[76:77], v[74:75]
; %bb.317:                              ;   in Loop: Header=BB2_129 Depth=3
	v_bfe_u32 v16, v4, 20, 1
	v_mov_b32_e32 v17, v55
	s_delay_alu instid0(VALU_DEP_1) | instskip(NEXT) | instid1(VALU_DEP_1)
	v_add_nc_u64_e32 v[16:17], v[4:5], v[16:17]
	v_add_nc_u64_e32 v[16:17], -1, v[16:17]
; %bb.318:                              ;   in Loop: Header=BB2_129 Depth=3
	s_or_b32 exec_lo, exec_lo, s22
	v_add_nc_u32_e32 v5, 0xffffff81, v63
	v_lshrrev_b32_e32 v17, 23, v4
	s_mov_b32 s8, exec_lo
	s_delay_alu instid0(VALU_DEP_2) | instskip(NEXT) | instid1(VALU_DEP_1)
	v_cndmask_b32_e64 v5, v5, 0xffffff82, vcc_lo
	v_add3_u32 v17, v73, v5, v17
	v_and_b32_e32 v5, 0xfffff, v16
                                        ; implicit-def: $vgpr16
	s_delay_alu instid0(VALU_DEP_1) | instskip(SKIP_1) | instid1(VALU_DEP_2)
	v_dual_add_nc_u32 v63, 6, v17 :: v_dual_add_nc_u32 v4, v5, v4
	v_mov_b32_e32 v5, v55
	v_cmpx_ne_u32_e32 0, v63
	s_xor_b32 s8, exec_lo, s8
; %bb.319:                              ;   in Loop: Header=BB2_129 Depth=3
	s_delay_alu instid0(VALU_DEP_2) | instskip(SKIP_2) | instid1(VALU_DEP_2)
	v_cmp_lt_u64_e32 vcc_lo, 0xffffff, v[4:5]
	v_add_nc_u32_e32 v16, 7, v17
	v_cndmask_b32_e64 v17, 0, 1, vcc_lo
	v_cndmask_b32_e32 v16, v63, v16, vcc_lo
	s_delay_alu instid0(VALU_DEP_2)
	v_lshrrev_b64 v[4:5], v17, v[4:5]
; %bb.320:                              ;   in Loop: Header=BB2_129 Depth=3
	s_and_not1_saveexec_b32 s8, s8
; %bb.321:                              ;   in Loop: Header=BB2_129 Depth=3
	s_delay_alu instid0(VALU_DEP_1)
	v_bfe_u32 v16, v4, 23, 1
; %bb.322:                              ;   in Loop: Header=BB2_129 Depth=3
	s_or_b32 exec_lo, exec_lo, s8
	s_delay_alu instid0(VALU_DEP_2) | instskip(NEXT) | instid1(VALU_DEP_2)
	v_lshrrev_b64 v[4:5], 20, v[4:5]
	v_cmp_gt_i32_e32 vcc_lo, 16, v16
	v_min_i32_e32 v17, 15, v16
	v_cmp_eq_u32_e64 s8, 0, v16
	s_delay_alu instid0(VALU_DEP_4) | instskip(NEXT) | instid1(VALU_DEP_3)
	v_cndmask_b32_e32 v5, 0, v5, vcc_lo
	v_dual_cndmask_b32 v4, 7, v4 :: v_dual_lshlrev_b32 v17, 3, v17
	s_delay_alu instid0(VALU_DEP_1) | instskip(NEXT) | instid1(VALU_DEP_2)
	v_and_b32_e32 v17, 0xf8, v17
	v_cmp_eq_u64_e32 vcc_lo, 0, v[4:5]
	s_delay_alu instid0(VALU_DEP_2)
	v_and_or_b32 v4, v4, 7, v17
	s_and_b32 s8, s8, vcc_lo
	s_delay_alu instid0(VALU_DEP_1) | instid1(SALU_CYCLE_1)
	v_cndmask_b32_e64 v4, v4, 0, s8
	s_delay_alu instid0(VALU_DEP_1)
	v_or_b32_e32 v63, v4, v72
.LBB2_323:                              ;   in Loop: Header=BB2_129 Depth=3
	s_or_b32 exec_lo, exec_lo, s21
                                        ; implicit-def: $vgpr72
.LBB2_324:                              ;   in Loop: Header=BB2_129 Depth=3
	s_and_not1_saveexec_b32 s8, s20
; %bb.325:                              ;   in Loop: Header=BB2_129 Depth=3
	v_or_b32_e32 v63, 0x7e, v72
; %bb.326:                              ;   in Loop: Header=BB2_129 Depth=3
	s_or_b32 exec_lo, exec_lo, s8
                                        ; implicit-def: $vgpr5
.LBB2_327:                              ;   in Loop: Header=BB2_129 Depth=3
	s_and_not1_saveexec_b32 s8, s19
; %bb.328:                              ;   in Loop: Header=BB2_129 Depth=3
	v_or_b32_e32 v63, 0x7f, v5
; %bb.329:                              ;   in Loop: Header=BB2_129 Depth=3
	s_or_b32 exec_lo, exec_lo, s8
	v_dual_lshrrev_b32 v72, 16, v18 :: v_dual_mov_b32 v16, 0
	v_mov_b32_e32 v17, 0
	s_mov_b32 s8, exec_lo
	s_delay_alu instid0(VALU_DEP_2) | instskip(NEXT) | instid1(VALU_DEP_1)
	v_and_b32_e32 v4, 0xff, v72
	v_cmpx_ne_u16_e32 0, v4
	s_cbranch_execz .LBB2_337
; %bb.330:                              ;   in Loop: Header=BB2_129 Depth=3
	v_bfrev_b32_e32 v17, 1
	s_mov_b32 s19, exec_lo
	v_cmpx_ne_u16_e32 0x80, v4
	s_cbranch_execz .LBB2_336
; %bb.331:                              ;   in Loop: Header=BB2_129 Depth=3
	v_bfe_u32 v73, v18, 16, 7
	v_mov_b32_e32 v17, 0x7f800001
	s_mov_b32 s20, exec_lo
	s_delay_alu instid0(VALU_DEP_2)
	v_cmpx_ne_u32_e32 0x7f, v73
	s_cbranch_execz .LBB2_335
; %bb.332:                              ;   in Loop: Header=BB2_129 Depth=3
	v_dual_mov_b32 v5, v55 :: v_dual_bitop2_b32 v4, 7, v72 bitop3:0x40
	v_lshrrev_b32_e32 v17, 3, v73
	s_mov_b32 s21, exec_lo
	v_cmpx_gt_u32_e32 8, v73
; %bb.333:                              ;   in Loop: Header=BB2_129 Depth=3
	s_delay_alu instid0(VALU_DEP_3) | instskip(NEXT) | instid1(VALU_DEP_1)
	v_clz_i32_u32_e32 v17, v4
	v_min_u32_e32 v17, 32, v17
	s_delay_alu instid0(VALU_DEP_1) | instskip(NEXT) | instid1(VALU_DEP_1)
	v_subrev_nc_u32_e32 v73, 28, v17
	v_lshlrev_b64_e32 v[4:5], v73, v[4:5]
	s_delay_alu instid0(VALU_DEP_1)
	v_dual_sub_nc_u32 v17, 29, v17 :: v_dual_bitop2_b32 v4, 7, v4 bitop3:0x40
; %bb.334:                              ;   in Loop: Header=BB2_129 Depth=3
	s_or_b32 exec_lo, exec_lo, s21
	v_lshlrev_b32_e32 v5, 24, v72
	s_delay_alu instid0(VALU_DEP_2) | instskip(NEXT) | instid1(VALU_DEP_3)
	v_lshlrev_b32_e32 v4, 20, v4
	v_lshl_add_u32 v17, v17, 23, 0x3c000000
	s_delay_alu instid0(VALU_DEP_3) | instskip(NEXT) | instid1(VALU_DEP_1)
	v_and_b32_e32 v5, 0x80000000, v5
	v_or3_b32 v17, v4, v5, v17
.LBB2_335:                              ;   in Loop: Header=BB2_129 Depth=3
	s_or_b32 exec_lo, exec_lo, s20
.LBB2_336:                              ;   in Loop: Header=BB2_129 Depth=3
	s_delay_alu instid0(SALU_CYCLE_1)
	s_or_b32 exec_lo, exec_lo, s19
.LBB2_337:                              ;   in Loop: Header=BB2_129 Depth=3
	s_delay_alu instid0(SALU_CYCLE_1) | instskip(SKIP_2) | instid1(VALU_DEP_1)
	s_or_b32 exec_lo, exec_lo, s8
	v_lshrrev_b32_e32 v4, 16, v54
	s_mov_b32 s8, exec_lo
	v_and_b32_e32 v5, 0xff, v4
	s_delay_alu instid0(VALU_DEP_1)
	v_cmpx_ne_u16_e32 0, v5
	s_cbranch_execz .LBB2_345
; %bb.338:                              ;   in Loop: Header=BB2_129 Depth=3
	v_bfrev_b32_e32 v16, 1
	s_mov_b32 s19, exec_lo
	v_cmpx_ne_u16_e32 0x80, v5
	s_cbranch_execz .LBB2_344
; %bb.339:                              ;   in Loop: Header=BB2_129 Depth=3
	v_bfe_u32 v72, v54, 16, 7
	v_mov_b32_e32 v16, 0x7f800001
	s_mov_b32 s20, exec_lo
	s_delay_alu instid0(VALU_DEP_2)
	v_cmpx_ne_u32_e32 0x7f, v72
	s_cbranch_execz .LBB2_343
; %bb.340:                              ;   in Loop: Header=BB2_129 Depth=3
	v_dual_mov_b32 v5, v55 :: v_dual_bitop2_b32 v4, 7, v4 bitop3:0x40
	v_lshrrev_b32_e32 v16, 3, v72
	s_mov_b32 s21, exec_lo
	v_cmpx_gt_u32_e32 8, v72
; %bb.341:                              ;   in Loop: Header=BB2_129 Depth=3
	s_delay_alu instid0(VALU_DEP_3) | instskip(NEXT) | instid1(VALU_DEP_1)
	v_clz_i32_u32_e32 v16, v4
	v_min_u32_e32 v16, 32, v16
	s_delay_alu instid0(VALU_DEP_1) | instskip(SKIP_1) | instid1(VALU_DEP_2)
	v_subrev_nc_u32_e32 v72, 28, v16
	v_sub_nc_u32_e32 v16, 29, v16
	v_lshlrev_b64_e32 v[4:5], v72, v[4:5]
	s_delay_alu instid0(VALU_DEP_1)
	v_and_b32_e32 v4, 7, v4
; %bb.342:                              ;   in Loop: Header=BB2_129 Depth=3
	s_or_b32 exec_lo, exec_lo, s21
	s_delay_alu instid0(VALU_DEP_1) | instskip(SKIP_1) | instid1(VALU_DEP_2)
	v_dual_lshlrev_b32 v5, 8, v54 :: v_dual_lshlrev_b32 v4, 20, v4
	v_lshl_add_u32 v16, v16, 23, 0x3c000000
	v_and_b32_e32 v5, 0x80000000, v5
	s_delay_alu instid0(VALU_DEP_1)
	v_or3_b32 v16, v4, v5, v16
.LBB2_343:                              ;   in Loop: Header=BB2_129 Depth=3
	s_or_b32 exec_lo, exec_lo, s20
.LBB2_344:                              ;   in Loop: Header=BB2_129 Depth=3
	s_delay_alu instid0(SALU_CYCLE_1)
	s_or_b32 exec_lo, exec_lo, s19
.LBB2_345:                              ;   in Loop: Header=BB2_129 Depth=3
	s_delay_alu instid0(SALU_CYCLE_1) | instskip(NEXT) | instid1(VALU_DEP_1)
	s_or_b32 exec_lo, exec_lo, s8
	v_dual_add_f32 v4, v17, v16 :: v_dual_mov_b32 v17, v55
                                        ; implicit-def: $vgpr72
	s_mov_b32 s8, exec_lo
	s_delay_alu instid0(VALU_DEP_1) | instskip(SKIP_1) | instid1(VALU_DEP_2)
	v_and_b32_e32 v16, 0x7f800000, v4
	v_lshrrev_b32_e32 v5, 24, v4
	v_cmpx_ne_u64_e32 0x7f800000, v[16:17]
	s_xor_b32 s19, exec_lo, s8
	s_cbranch_execz .LBB2_359
; %bb.346:                              ;   in Loop: Header=BB2_129 Depth=3
	v_and_b32_e32 v16, 0x7fffffff, v4
	v_mov_b32_e32 v17, v55
	v_and_b32_e32 v73, 0x80, v5
                                        ; implicit-def: $vgpr72
	s_mov_b32 s8, exec_lo
	s_delay_alu instid0(VALU_DEP_2)
	v_cmpx_gt_u64_e32 0x43e00001, v[16:17]
	s_xor_b32 s20, exec_lo, s8
	s_cbranch_execz .LBB2_356
; %bb.347:                              ;   in Loop: Header=BB2_129 Depth=3
	v_mov_b32_e32 v72, 0
	s_mov_b32 s21, exec_lo
	v_cmpx_ne_u32_e32 0, v4
	s_cbranch_execz .LBB2_355
; %bb.348:                              ;   in Loop: Header=BB2_129 Depth=3
	v_bfe_u32 v72, v4, 23, 8
	v_and_b32_e32 v16, 0x7fffff, v4
	s_mov_b32 s22, exec_lo
	s_delay_alu instid0(VALU_DEP_2) | instskip(SKIP_1) | instid1(VALU_DEP_3)
	v_sub_nc_u32_e32 v5, 0x79, v72
	v_cmp_gt_u32_e32 vcc_lo, 0x7a, v72
	v_or_b32_e32 v17, 0x800000, v16
	s_delay_alu instid0(VALU_DEP_3) | instskip(SKIP_1) | instid1(VALU_DEP_2)
	v_cndmask_b32_e32 v5, 0, v5, vcc_lo
	v_cmp_eq_u32_e32 vcc_lo, 0, v72
	v_cndmask_b32_e64 v74, v5, 0x78, vcc_lo
	s_delay_alu instid0(VALU_DEP_4) | instskip(NEXT) | instid1(VALU_DEP_2)
	v_dual_cndmask_b32 v16, v17, v16 :: v_dual_mov_b32 v17, v55
	v_dual_add_nc_u32 v4, 20, v74 :: v_dual_add_nc_u32 v75, 19, v74
	s_delay_alu instid0(VALU_DEP_1) | instskip(NEXT) | instid1(VALU_DEP_2)
	v_lshlrev_b64_e64 v[4:5], v4, -1
	v_lshlrev_b64_e64 v[76:77], v75, 1
	s_delay_alu instid0(VALU_DEP_2) | instskip(NEXT) | instid1(VALU_DEP_3)
	v_bfi_b32 v79, v5, 0, 0
	v_bfi_b32 v78, v4, 0, v16
	v_lshrrev_b64 v[4:5], v74, v[16:17]
	s_delay_alu instid0(VALU_DEP_1) | instskip(NEXT) | instid1(VALU_DEP_3)
	v_mov_b64_e32 v[16:17], v[4:5]
	v_cmpx_eq_u64_e64 v[78:79], v[76:77]
; %bb.349:                              ;   in Loop: Header=BB2_129 Depth=3
	v_bfe_u32 v16, v4, 20, 1
	v_mov_b32_e32 v17, v55
	s_delay_alu instid0(VALU_DEP_1) | instskip(NEXT) | instid1(VALU_DEP_1)
	v_add_nc_u64_e32 v[16:17], v[4:5], v[16:17]
	v_add_nc_u64_e32 v[16:17], -1, v[16:17]
; %bb.350:                              ;   in Loop: Header=BB2_129 Depth=3
	s_or_b32 exec_lo, exec_lo, s22
	v_add_nc_u32_e32 v5, 0xffffff81, v72
	v_lshrrev_b32_e32 v17, 23, v4
	s_mov_b32 s8, exec_lo
	s_delay_alu instid0(VALU_DEP_2) | instskip(NEXT) | instid1(VALU_DEP_1)
	v_cndmask_b32_e64 v5, v5, 0xffffff82, vcc_lo
	v_add3_u32 v17, v74, v5, v17
	v_and_b32_e32 v5, 0xfffff, v16
                                        ; implicit-def: $vgpr16
	s_delay_alu instid0(VALU_DEP_1) | instskip(SKIP_1) | instid1(VALU_DEP_2)
	v_dual_add_nc_u32 v72, 6, v17 :: v_dual_add_nc_u32 v4, v5, v4
	v_mov_b32_e32 v5, v55
	v_cmpx_ne_u32_e32 0, v72
	s_xor_b32 s8, exec_lo, s8
; %bb.351:                              ;   in Loop: Header=BB2_129 Depth=3
	s_delay_alu instid0(VALU_DEP_2) | instskip(SKIP_2) | instid1(VALU_DEP_2)
	v_cmp_lt_u64_e32 vcc_lo, 0xffffff, v[4:5]
	v_add_nc_u32_e32 v16, 7, v17
	v_cndmask_b32_e64 v17, 0, 1, vcc_lo
	v_cndmask_b32_e32 v16, v72, v16, vcc_lo
	s_delay_alu instid0(VALU_DEP_2)
	v_lshrrev_b64 v[4:5], v17, v[4:5]
; %bb.352:                              ;   in Loop: Header=BB2_129 Depth=3
	s_and_not1_saveexec_b32 s8, s8
; %bb.353:                              ;   in Loop: Header=BB2_129 Depth=3
	s_delay_alu instid0(VALU_DEP_1)
	v_bfe_u32 v16, v4, 23, 1
; %bb.354:                              ;   in Loop: Header=BB2_129 Depth=3
	s_or_b32 exec_lo, exec_lo, s8
	s_delay_alu instid0(VALU_DEP_2) | instskip(NEXT) | instid1(VALU_DEP_2)
	v_lshrrev_b64 v[4:5], 20, v[4:5]
	v_cmp_gt_i32_e32 vcc_lo, 16, v16
	v_min_i32_e32 v17, 15, v16
	v_cmp_eq_u32_e64 s8, 0, v16
	s_delay_alu instid0(VALU_DEP_4) | instskip(NEXT) | instid1(VALU_DEP_3)
	v_cndmask_b32_e32 v5, 0, v5, vcc_lo
	v_dual_cndmask_b32 v4, 7, v4 :: v_dual_lshlrev_b32 v17, 3, v17
	s_delay_alu instid0(VALU_DEP_1) | instskip(NEXT) | instid1(VALU_DEP_2)
	v_and_b32_e32 v17, 0xf8, v17
	v_cmp_eq_u64_e32 vcc_lo, 0, v[4:5]
	s_delay_alu instid0(VALU_DEP_2)
	v_and_or_b32 v4, v4, 7, v17
	s_and_b32 s8, s8, vcc_lo
	s_delay_alu instid0(VALU_DEP_1) | instid1(SALU_CYCLE_1)
	v_cndmask_b32_e64 v4, v4, 0, s8
	s_delay_alu instid0(VALU_DEP_1)
	v_or_b32_e32 v72, v4, v73
.LBB2_355:                              ;   in Loop: Header=BB2_129 Depth=3
	s_or_b32 exec_lo, exec_lo, s21
                                        ; implicit-def: $vgpr73
.LBB2_356:                              ;   in Loop: Header=BB2_129 Depth=3
	s_and_not1_saveexec_b32 s8, s20
; %bb.357:                              ;   in Loop: Header=BB2_129 Depth=3
	v_or_b32_e32 v72, 0x7e, v73
; %bb.358:                              ;   in Loop: Header=BB2_129 Depth=3
	s_or_b32 exec_lo, exec_lo, s8
                                        ; implicit-def: $vgpr5
.LBB2_359:                              ;   in Loop: Header=BB2_129 Depth=3
	s_and_not1_saveexec_b32 s8, s19
; %bb.360:                              ;   in Loop: Header=BB2_129 Depth=3
	v_or_b32_e32 v72, 0x7f, v5
; %bb.361:                              ;   in Loop: Header=BB2_129 Depth=3
	s_or_b32 exec_lo, exec_lo, s8
	v_and_b32_e32 v4, 0xff000000, v18
	v_dual_mov_b32 v5, v55 :: v_dual_mov_b32 v16, 0
	s_delay_alu instid0(VALU_DEP_1)
	v_cmp_ne_u64_e32 vcc_lo, 0, v[4:5]
	v_mov_b32_e32 v4, 0
	s_and_saveexec_b32 s8, vcc_lo
	s_cbranch_execz .LBB2_369
; %bb.362:                              ;   in Loop: Header=BB2_129 Depth=3
	v_lshrrev_b32_e32 v17, 24, v18
	v_bfrev_b32_e32 v4, 1
	s_mov_b32 s19, exec_lo
	s_delay_alu instid0(VALU_DEP_2)
	v_cmpx_ne_u32_e32 0x80, v17
	s_cbranch_execz .LBB2_368
; %bb.363:                              ;   in Loop: Header=BB2_129 Depth=3
	v_bfe_u32 v73, v18, 24, 7
	v_mov_b32_e32 v4, 0x7f800001
	s_mov_b32 s20, exec_lo
	s_delay_alu instid0(VALU_DEP_2)
	v_cmpx_ne_u32_e32 0x7f, v73
	s_cbranch_execz .LBB2_367
; %bb.364:                              ;   in Loop: Header=BB2_129 Depth=3
	v_dual_mov_b32 v5, v55 :: v_dual_bitop2_b32 v4, 7, v17 bitop3:0x40
	v_lshrrev_b32_e32 v18, 3, v73
	s_mov_b32 s21, exec_lo
	v_cmpx_gt_u32_e32 8, v73
; %bb.365:                              ;   in Loop: Header=BB2_129 Depth=3
	s_delay_alu instid0(VALU_DEP_3) | instskip(NEXT) | instid1(VALU_DEP_1)
	v_clz_i32_u32_e32 v18, v4
	v_min_u32_e32 v18, 32, v18
	s_delay_alu instid0(VALU_DEP_1) | instskip(NEXT) | instid1(VALU_DEP_1)
	v_subrev_nc_u32_e32 v73, 28, v18
	v_lshlrev_b64_e32 v[4:5], v73, v[4:5]
	s_delay_alu instid0(VALU_DEP_1)
	v_dual_sub_nc_u32 v18, 29, v18 :: v_dual_bitop2_b32 v4, 7, v4 bitop3:0x40
; %bb.366:                              ;   in Loop: Header=BB2_129 Depth=3
	s_or_b32 exec_lo, exec_lo, s21
	s_delay_alu instid0(VALU_DEP_1) | instskip(NEXT) | instid1(VALU_DEP_2)
	v_dual_lshlrev_b32 v5, 24, v17 :: v_dual_lshlrev_b32 v4, 20, v4
	v_lshl_add_u32 v17, v18, 23, 0x3c000000
	s_delay_alu instid0(VALU_DEP_2) | instskip(NEXT) | instid1(VALU_DEP_1)
	v_and_b32_e32 v5, 0x80000000, v5
	v_or3_b32 v4, v4, v5, v17
.LBB2_367:                              ;   in Loop: Header=BB2_129 Depth=3
	s_or_b32 exec_lo, exec_lo, s20
.LBB2_368:                              ;   in Loop: Header=BB2_129 Depth=3
	s_delay_alu instid0(SALU_CYCLE_1)
	s_or_b32 exec_lo, exec_lo, s19
.LBB2_369:                              ;   in Loop: Header=BB2_129 Depth=3
	s_delay_alu instid0(SALU_CYCLE_1) | instskip(NEXT) | instid1(SALU_CYCLE_1)
	s_or_b32 exec_lo, exec_lo, s8
	s_mov_b32 s8, exec_lo
	v_cmpx_lt_u32_e32 0xffffff, v54
	s_cbranch_execz .LBB2_377
; %bb.370:                              ;   in Loop: Header=BB2_129 Depth=3
	v_lshrrev_b32_e32 v5, 24, v54
	v_bfrev_b32_e32 v16, 1
	s_mov_b32 s19, exec_lo
	s_delay_alu instid0(VALU_DEP_2)
	v_cmpx_ne_u32_e32 0x80, v5
	s_cbranch_execz .LBB2_376
; %bb.371:                              ;   in Loop: Header=BB2_129 Depth=3
	v_bfe_u32 v17, v54, 24, 7
	v_mov_b32_e32 v16, 0x7f800001
	s_mov_b32 s20, exec_lo
	s_delay_alu instid0(VALU_DEP_2)
	v_cmpx_ne_u32_e32 0x7f, v17
	s_cbranch_execz .LBB2_375
; %bb.372:                              ;   in Loop: Header=BB2_129 Depth=3
	v_and_b32_e32 v54, 7, v5
	v_lshrrev_b32_e32 v16, 3, v17
	s_mov_b32 s21, exec_lo
	v_cmpx_gt_u32_e32 8, v17
; %bb.373:                              ;   in Loop: Header=BB2_129 Depth=3
	s_delay_alu instid0(VALU_DEP_3) | instskip(NEXT) | instid1(VALU_DEP_1)
	v_clz_i32_u32_e32 v16, v54
	v_min_u32_e32 v16, 32, v16
	s_delay_alu instid0(VALU_DEP_1) | instskip(NEXT) | instid1(VALU_DEP_1)
	v_subrev_nc_u32_e32 v17, 28, v16
	v_lshlrev_b64_e32 v[74:75], v17, v[54:55]
	s_delay_alu instid0(VALU_DEP_1)
	v_dual_sub_nc_u32 v16, 29, v16 :: v_dual_bitop2_b32 v54, 7, v74 bitop3:0x40
; %bb.374:                              ;   in Loop: Header=BB2_129 Depth=3
	s_or_b32 exec_lo, exec_lo, s21
	s_delay_alu instid0(VALU_DEP_1) | instskip(NEXT) | instid1(VALU_DEP_2)
	v_dual_lshlrev_b32 v5, 24, v5 :: v_dual_lshlrev_b32 v17, 20, v54
	v_lshl_add_u32 v16, v16, 23, 0x3c000000
	s_delay_alu instid0(VALU_DEP_2) | instskip(NEXT) | instid1(VALU_DEP_1)
	v_and_b32_e32 v5, 0x80000000, v5
	v_or3_b32 v16, v17, v5, v16
.LBB2_375:                              ;   in Loop: Header=BB2_129 Depth=3
	s_or_b32 exec_lo, exec_lo, s20
.LBB2_376:                              ;   in Loop: Header=BB2_129 Depth=3
	s_delay_alu instid0(SALU_CYCLE_1)
	s_or_b32 exec_lo, exec_lo, s19
.LBB2_377:                              ;   in Loop: Header=BB2_129 Depth=3
	s_delay_alu instid0(SALU_CYCLE_1) | instskip(NEXT) | instid1(VALU_DEP_1)
	s_or_b32 exec_lo, exec_lo, s8
	v_add_f32_e32 v5, v4, v16
                                        ; implicit-def: $vgpr4
	s_mov_b32 s8, exec_lo
	s_delay_alu instid0(VALU_DEP_1) | instskip(SKIP_1) | instid1(VALU_DEP_2)
	v_and_b32_e32 v54, 0x7f800000, v5
	v_lshrrev_b32_e32 v16, 24, v5
	v_cmpx_ne_u64_e32 0x7f800000, v[54:55]
	s_xor_b32 s19, exec_lo, s8
	s_cbranch_execz .LBB2_391
; %bb.378:                              ;   in Loop: Header=BB2_129 Depth=3
	v_and_b32_e32 v54, 0x7fffffff, v5
	v_and_b32_e32 v18, 0x80, v16
                                        ; implicit-def: $vgpr4
	s_mov_b32 s8, exec_lo
	s_delay_alu instid0(VALU_DEP_2)
	v_cmpx_gt_u64_e32 0x43e00001, v[54:55]
	s_xor_b32 s20, exec_lo, s8
	s_cbranch_execz .LBB2_388
; %bb.379:                              ;   in Loop: Header=BB2_129 Depth=3
	v_mov_b32_e32 v4, 0
	s_mov_b32 s21, exec_lo
	v_cmpx_ne_u32_e32 0, v5
	s_cbranch_execz .LBB2_387
; %bb.380:                              ;   in Loop: Header=BB2_129 Depth=3
	v_bfe_u32 v73, v5, 23, 8
	v_and_b32_e32 v16, 0x7fffff, v5
	s_delay_alu instid0(VALU_DEP_2) | instskip(SKIP_1) | instid1(VALU_DEP_3)
	v_sub_nc_u32_e32 v4, 0x79, v73
	v_cmp_gt_u32_e32 vcc_lo, 0x7a, v73
	v_or_b32_e32 v17, 0x800000, v16
	s_delay_alu instid0(VALU_DEP_3) | instskip(SKIP_1) | instid1(VALU_DEP_2)
	v_cndmask_b32_e32 v4, 0, v4, vcc_lo
	v_cmp_eq_u32_e32 vcc_lo, 0, v73
	v_cndmask_b32_e64 v74, v4, 0x78, vcc_lo
	s_delay_alu instid0(VALU_DEP_1) | instskip(SKIP_1) | instid1(VALU_DEP_2)
	v_dual_cndmask_b32 v54, v17, v16, vcc_lo :: v_dual_add_nc_u32 v4, 20, v74
	v_add_nc_u32_e32 v75, 19, v74
	v_lshlrev_b64_e64 v[4:5], v4, -1
	s_delay_alu instid0(VALU_DEP_2) | instskip(NEXT) | instid1(VALU_DEP_2)
	v_lshlrev_b64_e64 v[16:17], v75, 1
	v_bfi_b32 v77, v5, 0, 0
	s_delay_alu instid0(VALU_DEP_3) | instskip(SKIP_1) | instid1(VALU_DEP_2)
	v_bfi_b32 v76, v4, 0, v54
	v_lshrrev_b64 v[4:5], v74, v[54:55]
	v_cmp_eq_u64_e64 s8, v[76:77], v[16:17]
	s_delay_alu instid0(VALU_DEP_2)
	v_mov_b64_e32 v[16:17], v[4:5]
	s_and_saveexec_b32 s22, s8
; %bb.381:                              ;   in Loop: Header=BB2_129 Depth=3
	v_bfe_u32 v54, v4, 20, 1
	s_delay_alu instid0(VALU_DEP_1) | instskip(NEXT) | instid1(VALU_DEP_1)
	v_add_nc_u64_e32 v[16:17], v[4:5], v[54:55]
	v_add_nc_u64_e32 v[16:17], -1, v[16:17]
; %bb.382:                              ;   in Loop: Header=BB2_129 Depth=3
	s_or_b32 exec_lo, exec_lo, s22
	v_add_nc_u32_e32 v5, 0xffffff81, v73
	v_lshrrev_b32_e32 v17, 23, v4
	s_mov_b32 s8, exec_lo
	s_delay_alu instid0(VALU_DEP_2) | instskip(NEXT) | instid1(VALU_DEP_1)
	v_cndmask_b32_e64 v5, v5, 0xffffff82, vcc_lo
	v_add3_u32 v17, v74, v5, v17
	v_and_b32_e32 v5, 0xfffff, v16
                                        ; implicit-def: $vgpr16
	s_delay_alu instid0(VALU_DEP_1) | instskip(NEXT) | instid1(VALU_DEP_1)
	v_dual_add_nc_u32 v73, 6, v17 :: v_dual_add_nc_u32 v54, v5, v4
                                        ; implicit-def: $vgpr4_vgpr5
	v_cmpx_ne_u32_e32 0, v73
	s_xor_b32 s8, exec_lo, s8
; %bb.383:                              ;   in Loop: Header=BB2_129 Depth=3
	s_delay_alu instid0(VALU_DEP_2) | instskip(SKIP_1) | instid1(VALU_DEP_1)
	v_cmp_lt_u64_e32 vcc_lo, 0xffffff, v[54:55]
	v_add_nc_u32_e32 v4, 7, v17
	v_cndmask_b32_e32 v16, v73, v4, vcc_lo
	v_cndmask_b32_e64 v4, 0, 1, vcc_lo
	s_delay_alu instid0(VALU_DEP_1)
	v_lshrrev_b64 v[4:5], v4, v[54:55]
; %bb.384:                              ;   in Loop: Header=BB2_129 Depth=3
	s_and_not1_saveexec_b32 s8, s8
; %bb.385:                              ;   in Loop: Header=BB2_129 Depth=3
	v_mov_b64_e32 v[4:5], v[54:55]
	v_bfe_u32 v16, v54, 23, 1
; %bb.386:                              ;   in Loop: Header=BB2_129 Depth=3
	s_or_b32 exec_lo, exec_lo, s8
	s_delay_alu instid0(VALU_DEP_2) | instskip(NEXT) | instid1(VALU_DEP_2)
	v_lshrrev_b64 v[4:5], 20, v[4:5]
	v_cmp_gt_i32_e32 vcc_lo, 16, v16
	v_min_i32_e32 v17, 15, v16
	v_cmp_eq_u32_e64 s8, 0, v16
	s_delay_alu instid0(VALU_DEP_4) | instskip(NEXT) | instid1(VALU_DEP_3)
	v_cndmask_b32_e32 v5, 0, v5, vcc_lo
	v_dual_cndmask_b32 v4, 7, v4 :: v_dual_lshlrev_b32 v17, 3, v17
	s_delay_alu instid0(VALU_DEP_1) | instskip(NEXT) | instid1(VALU_DEP_2)
	v_and_b32_e32 v17, 0xf8, v17
	v_cmp_eq_u64_e32 vcc_lo, 0, v[4:5]
	s_delay_alu instid0(VALU_DEP_2)
	v_and_or_b32 v4, v4, 7, v17
	s_and_b32 s8, s8, vcc_lo
	s_delay_alu instid0(VALU_DEP_1) | instid1(SALU_CYCLE_1)
	v_cndmask_b32_e64 v4, v4, 0, s8
	s_delay_alu instid0(VALU_DEP_1)
	v_or_b32_e32 v4, v4, v18
.LBB2_387:                              ;   in Loop: Header=BB2_129 Depth=3
	s_or_b32 exec_lo, exec_lo, s21
                                        ; implicit-def: $vgpr18
.LBB2_388:                              ;   in Loop: Header=BB2_129 Depth=3
	s_and_not1_saveexec_b32 s8, s20
; %bb.389:                              ;   in Loop: Header=BB2_129 Depth=3
	v_or_b32_e32 v4, 0x7e, v18
; %bb.390:                              ;   in Loop: Header=BB2_129 Depth=3
	s_or_b32 exec_lo, exec_lo, s8
                                        ; implicit-def: $vgpr16
.LBB2_391:                              ;   in Loop: Header=BB2_129 Depth=3
	s_and_not1_saveexec_b32 s8, s19
	s_cbranch_execz .LBB2_128
; %bb.392:                              ;   in Loop: Header=BB2_129 Depth=3
	v_or_b32_e32 v4, 0x7f, v16
	s_branch .LBB2_128
.LBB2_393:                              ;   in Loop: Header=BB2_85 Depth=2
	s_or_b32 exec_lo, exec_lo, s18
	s_delay_alu instid0(SALU_CYCLE_1)
	s_or_b32 exec_lo, exec_lo, s17
	s_and_saveexec_b32 s8, s3
	s_cbranch_execz .LBB2_122
.LBB2_394:                              ;   in Loop: Header=BB2_85 Depth=2
	s_and_saveexec_b32 s17, s4
	s_delay_alu instid0(SALU_CYCLE_1)
	s_xor_b32 s17, exec_lo, s17
	s_cbranch_execz .LBB2_409
; %bb.395:                              ;   in Loop: Header=BB2_85 Depth=2
	s_and_saveexec_b32 s18, s5
	s_cbranch_execz .LBB2_408
; %bb.396:                              ;   in Loop: Header=BB2_85 Depth=2
	s_mov_b32 s20, exec_lo
	s_mov_b32 s19, exec_lo
	v_mbcnt_lo_u32_b32 v2, s20, 0
	global_wb scope:SCOPE_DEV
	s_wait_storecnt 0x0
	s_wait_loadcnt_dscnt 0x0
	global_inv scope:SCOPE_DEV
	v_cmpx_eq_u32_e32 0, v2
	s_cbranch_execz .LBB2_398
; %bb.397:                              ;   in Loop: Header=BB2_85 Depth=2
	s_bcnt1_i32_b32 s20, s20
	s_delay_alu instid0(SALU_CYCLE_1)
	v_mov_b32_e32 v54, s20
	s_wait_loadcnt 0x0
	ds_add_u64 v0, v[54:55]
	s_trap 2
.LBB2_398:                              ;   in Loop: Header=BB2_85 Depth=2
	s_or_b32 exec_lo, exec_lo, s19
	s_trap 2
	ds_load_b64 v[4:5], v0
	s_wait_dscnt 0x0
	v_add_nc_u64_e32 v[52:53], v[52:53], v[84:85]
	s_mov_b32 s19, exec_lo
	s_delay_alu instid0(VALU_DEP_1)
	v_cmpx_lt_u64_e64 v[4:5], v[52:53]
	s_cbranch_execz .LBB2_407
; %bb.399:                              ;   in Loop: Header=BB2_85 Depth=2
	s_mov_b32 s20, 0
	s_mov_b32 s23, 0
                                        ; implicit-def: $sgpr21
                                        ; implicit-def: $sgpr22
	s_branch .LBB2_401
.LBB2_400:                              ;   in Loop: Header=BB2_401 Depth=3
	s_or_b32 exec_lo, exec_lo, s25
	s_delay_alu instid0(SALU_CYCLE_1) | instskip(NEXT) | instid1(SALU_CYCLE_1)
	s_and_b32 s24, exec_lo, s26
	s_or_b32 s20, s24, s20
	s_and_not1_b32 s21, s21, exec_lo
	s_and_b32 s24, s22, exec_lo
	s_delay_alu instid0(SALU_CYCLE_1)
	s_or_b32 s21, s21, s24
	s_and_not1_b32 exec_lo, exec_lo, s20
	s_cbranch_execz .LBB2_405
.LBB2_401:                              ;   Parent Loop BB2_36 Depth=1
                                        ;     Parent Loop BB2_85 Depth=2
                                        ; =>    This Inner Loop Header: Depth=3
	s_add_co_i32 s23, s23, 1
	s_delay_alu instid0(SALU_CYCLE_1) | instskip(SKIP_1) | instid1(SALU_CYCLE_1)
	s_cmp_lg_u32 s23, 0x2710
	s_cselect_b32 s24, -1, 0
	s_and_b32 vcc_lo, exec_lo, s24
	s_cbranch_vccz .LBB2_403
; %bb.402:                              ;   in Loop: Header=BB2_401 Depth=3
	s_mov_b32 s26, -1
	s_or_b32 s22, s22, exec_lo
	s_and_saveexec_b32 s25, s24
	s_cbranch_execz .LBB2_400
	s_branch .LBB2_404
.LBB2_403:                              ;   in Loop: Header=BB2_401 Depth=3
	s_trap 2
	ds_load_b64 v[4:5], v0
	s_and_not1_b32 s24, s24, exec_lo
	s_mov_b32 s23, 0
	s_wait_loadcnt_dscnt 0x0
	flat_load_b32 v2, v[4:5] scope:SCOPE_SYS
	s_wait_loadcnt_dscnt 0x0
	global_inv scope:SCOPE_SYS
	v_cmp_eq_u32_e32 vcc_lo, 0, v2
	s_and_b32 s25, vcc_lo, exec_lo
	s_delay_alu instid0(SALU_CYCLE_1)
	s_or_b32 s24, s24, s25
	s_mov_b32 s26, -1
	s_or_b32 s22, s22, exec_lo
	s_and_saveexec_b32 s25, s24
	s_cbranch_execz .LBB2_400
.LBB2_404:                              ;   in Loop: Header=BB2_401 Depth=3
	s_sleep 1
	s_trap 2
	ds_load_b64 v[4:5], v0
	s_wait_dscnt 0x0
	s_and_not1_b32 s22, s22, exec_lo
	v_cmp_ge_u64_e32 vcc_lo, v[4:5], v[52:53]
	s_or_not1_b32 s26, vcc_lo, exec_lo
	s_branch .LBB2_400
.LBB2_405:                              ;   in Loop: Header=BB2_85 Depth=2
	s_or_b32 exec_lo, exec_lo, s20
	s_and_saveexec_b32 s20, s21
	s_delay_alu instid0(SALU_CYCLE_1)
	s_xor_b32 s20, exec_lo, s20
	s_cbranch_execz .LBB2_407
; %bb.406:                              ;   in Loop: Header=BB2_85 Depth=2
	ds_store_b32 v0, v1
	s_trap 2
.LBB2_407:                              ;   in Loop: Header=BB2_85 Depth=2
	s_or_b32 exec_lo, exec_lo, s19
	;;#ASMSTART
	s_wakeup
	;;#ASMEND
.LBB2_408:                              ;   in Loop: Header=BB2_85 Depth=2
	s_or_b32 exec_lo, exec_lo, s18
.LBB2_409:                              ;   in Loop: Header=BB2_85 Depth=2
	s_and_not1_saveexec_b32 s17, s17
	s_cbranch_execz .LBB2_411
; %bb.410:                              ;   in Loop: Header=BB2_85 Depth=2
	global_wb scope:SCOPE_DEV
	s_wait_storecnt 0x0
	s_wait_loadcnt_dscnt 0x0
	global_inv scope:SCOPE_DEV
	s_barrier_signal -1
	s_barrier_wait -1
.LBB2_411:                              ;   in Loop: Header=BB2_85 Depth=2
	s_or_b32 exec_lo, exec_lo, s17
	s_delay_alu instid0(SALU_CYCLE_1)
	s_or_b32 exec_lo, exec_lo, s8
	s_and_saveexec_b32 s8, s6
	s_cbranch_execnz .LBB2_123
	s_branch .LBB2_124
.LBB2_412:                              ;   in Loop: Header=BB2_36 Depth=1
	s_delay_alu instid0(VALU_DEP_1)
	v_mov_b64_e32 v[16:17], v[114:115]
	s_and_saveexec_b32 s8, s7
	s_cbranch_execnz .LBB2_415
; %bb.413:                              ;   in Loop: Header=BB2_36 Depth=1
	s_or_b32 exec_lo, exec_lo, s8
	s_and_saveexec_b32 s7, s3
	s_cbranch_execnz .LBB2_700
.LBB2_414:                              ;   in Loop: Header=BB2_36 Depth=1
	s_or_b32 exec_lo, exec_lo, s7
	s_and_saveexec_b32 s7, s6
	s_cbranch_execz .LBB2_35
	s_branch .LBB2_718
.LBB2_415:                              ;   in Loop: Header=BB2_36 Depth=1
	s_wait_loadcnt_dscnt 0x0
	flat_load_b32 v4, v[22:23]
	v_add_nc_u64_e32 v[2:3], v[10:11], v[112:113]
	v_dual_mov_b32 v116, v0 :: v_dual_bitop2_b32 v5, 7, v34 bitop3:0x40
	s_mov_b32 s16, 0
	v_add_nc_u32_e32 v42, 1, v34
	s_wait_loadcnt_dscnt 0x0
	s_delay_alu instid0(VALU_DEP_3) | instskip(SKIP_1) | instid1(VALU_DEP_2)
	v_mad_nc_u64_u32 v[2:3], v68, v4, v[2:3]
	v_ashrrev_i32_e32 v18, 31, v4
	v_mad_u32 v3, v69, v4, v3
	v_mul_lo_u32 v4, v5, s13
	s_delay_alu instid0(VALU_DEP_2) | instskip(NEXT) | instid1(VALU_DEP_2)
	v_mad_u32 v3, v68, v18, v3
	v_ashrrev_i32_e32 v5, 31, v4
	v_add_nc_u64_e32 v[18:19], v[8:9], v[112:113]
	s_delay_alu instid0(VALU_DEP_2) | instskip(NEXT) | instid1(VALU_DEP_4)
	v_lshl_add_u64 v[114:115], v[4:5], 4, v[32:33]
	v_add_nc_u64_e32 v[112:113], v[2:3], v[82:83]
	s_branch .LBB2_417
.LBB2_416:                              ;   in Loop: Header=BB2_417 Depth=2
	v_dual_sub_nc_u32 v57, v57, v86 :: v_dual_add_nc_u32 v116, v116, v20
	v_add_nc_u64_e32 v[112:113], v[112:113], v[86:87]
	s_wait_xcnt 0x0
	v_add_nc_u64_e32 v[18:19], v[18:19], v[86:87]
	s_delay_alu instid0(VALU_DEP_3) | instskip(SKIP_1) | instid1(SALU_CYCLE_1)
	v_cmp_gt_i32_e32 vcc_lo, 1, v57
	s_or_b32 s16, vcc_lo, s16
	s_and_not1_b32 exec_lo, exec_lo, s16
	s_cbranch_execz .LBB2_699
.LBB2_417:                              ;   Parent Loop BB2_36 Depth=1
                                        ; =>  This Loop Header: Depth=2
                                        ;       Child Loop BB2_425 Depth 3
	s_delay_alu instid0(VALU_DEP_1)
	v_dual_mov_b32 v3, v113 :: v_dual_bitop2_b32 v2, -4, v112 bitop3:0x40
	v_min_u32_e32 v4, 8, v57
	v_dual_mov_b32 v44, 0 :: v_dual_bitop2_b32 v5, 3, v112 bitop3:0x40
	v_mov_b32_e32 v45, 0
	global_load_b32 v40, v[2:3], off th:TH_LOAD_NT
	s_mov_b32 s7, exec_lo
	v_add_nc_u32_e32 v54, v5, v4
	s_wait_xcnt 0x0
	s_delay_alu instid0(VALU_DEP_1)
	v_cmpx_lt_u32_e32 4, v54
	s_cbranch_execz .LBB2_419
; %bb.418:                              ;   in Loop: Header=BB2_417 Depth=2
	global_load_b32 v45, v[2:3], off offset:4 th:TH_LOAD_NT
.LBB2_419:                              ;   in Loop: Header=BB2_417 Depth=2
	s_wait_xcnt 0x0
	s_or_b32 exec_lo, exec_lo, s7
	s_delay_alu instid0(SALU_CYCLE_1)
	s_mov_b32 s7, exec_lo
	v_cmpx_lt_u64_e32 8, v[54:55]
	s_cbranch_execz .LBB2_421
; %bb.420:                              ;   in Loop: Header=BB2_417 Depth=2
	global_load_b32 v44, v[2:3], off offset:8 th:TH_LOAD_NT
.LBB2_421:                              ;   in Loop: Header=BB2_417 Depth=2
	s_wait_xcnt 0x0
	s_or_b32 exec_lo, exec_lo, s7
	v_ashrrev_i32_e32 v117, 31, v116
	s_mov_b32 s17, exec_lo
	s_delay_alu instid0(VALU_DEP_1)
	v_lshl_add_u64 v[118:119], v[116:117], 4, v[114:115]
	global_load_b128 v[2:5], v[118:119], off th:TH_LOAD_NT
	s_wait_xcnt 0x0
	v_cmpx_eq_u32_e32 0, v21
	s_cbranch_execz .LBB2_433
; %bb.422:                              ;   in Loop: Header=BB2_417 Depth=2
	s_wait_loadcnt 0x0
	v_cmp_ne_u32_e32 vcc_lo, v42, v3
	v_cmp_ne_u32_e64 s7, v42, v5
	v_mov_b32_e32 v21, 0
	s_or_b32 s7, vcc_lo, s7
	s_delay_alu instid0(SALU_CYCLE_1)
	s_and_saveexec_b32 s18, s7
	s_cbranch_execz .LBB2_432
; %bb.423:                              ;   in Loop: Header=BB2_417 Depth=2
	s_mov_b32 s22, 1
	s_mov_b32 s20, 0
                                        ; implicit-def: $sgpr19
                                        ; implicit-def: $sgpr21
	s_branch .LBB2_425
.LBB2_424:                              ;   in Loop: Header=BB2_425 Depth=3
	s_or_b32 exec_lo, exec_lo, s24
	s_delay_alu instid0(SALU_CYCLE_1) | instskip(NEXT) | instid1(SALU_CYCLE_1)
	s_and_b32 s7, exec_lo, s7
	s_or_b32 s20, s7, s20
	s_and_not1_b32 s7, s19, exec_lo
	s_and_b32 s19, s21, exec_lo
	s_delay_alu instid0(SALU_CYCLE_1)
	s_or_b32 s19, s7, s19
	s_and_not1_b32 exec_lo, exec_lo, s20
	s_cbranch_execz .LBB2_429
.LBB2_425:                              ;   Parent Loop BB2_36 Depth=1
                                        ;     Parent Loop BB2_417 Depth=2
                                        ; =>    This Inner Loop Header: Depth=3
	s_wait_loadcnt 0x0
	global_load_b128 v[2:5], v[118:119], off th:TH_LOAD_NT
	s_add_co_i32 s22, s22, 1
	s_mov_b32 s7, -1
	s_cmp_lg_u32 s22, 0x2710
	s_mov_b32 s23, -1
                                        ; implicit-def: $vgpr54
	s_cbranch_scc0 .LBB2_427
; %bb.426:                              ;   in Loop: Header=BB2_425 Depth=3
	s_or_b32 s21, s21, exec_lo
	s_wait_xcnt 0x0
	s_and_saveexec_b32 s24, s23
	s_cbranch_execz .LBB2_424
	s_branch .LBB2_428
.LBB2_427:                              ;   in Loop: Header=BB2_425 Depth=3
	s_trap 2
	ds_load_b64 v[46:47], v0
	s_mov_b32 s22, 0
	s_wait_storecnt 0x0
	s_wait_loadcnt_dscnt 0x0
	flat_load_b32 v54, v[46:47] scope:SCOPE_SYS
	s_wait_loadcnt_dscnt 0x0
	global_inv scope:SCOPE_SYS
	v_cmp_eq_u32_e32 vcc_lo, 0, v54
	s_or_not1_b32 s23, vcc_lo, exec_lo
	s_or_b32 s21, s21, exec_lo
	s_wait_xcnt 0x0
	s_and_saveexec_b32 s24, s23
	s_cbranch_execz .LBB2_424
.LBB2_428:                              ;   in Loop: Header=BB2_425 Depth=3
	s_wait_loadcnt 0x0
	v_cmp_eq_u32_e32 vcc_lo, v42, v3
	v_cmp_eq_u32_e64 s7, v42, v5
	s_and_not1_b32 s21, s21, exec_lo
	s_and_b32 s7, vcc_lo, s7
	s_delay_alu instid0(SALU_CYCLE_1)
	s_or_not1_b32 s7, s7, exec_lo
	s_branch .LBB2_424
.LBB2_429:                              ;   in Loop: Header=BB2_417 Depth=2
	s_or_b32 exec_lo, exec_lo, s20
	v_mov_b32_e32 v21, 0
	s_and_saveexec_b32 s7, s19
	s_delay_alu instid0(SALU_CYCLE_1)
	s_xor_b32 s7, exec_lo, s7
	s_cbranch_execz .LBB2_431
; %bb.430:                              ;   in Loop: Header=BB2_417 Depth=2
	v_mov_b32_e32 v21, 1
	s_wait_loadcnt 0x0
	s_wait_storecnt 0x0
	ds_store_b32 v0, v54
	s_trap 2
.LBB2_431:                              ;   in Loop: Header=BB2_417 Depth=2
	s_or_b32 exec_lo, exec_lo, s7
.LBB2_432:                              ;   in Loop: Header=BB2_417 Depth=2
	s_delay_alu instid0(SALU_CYCLE_1)
	s_or_b32 exec_lo, exec_lo, s18
.LBB2_433:                              ;   in Loop: Header=BB2_417 Depth=2
	s_delay_alu instid0(SALU_CYCLE_1) | instskip(SKIP_4) | instid1(VALU_DEP_2)
	s_or_b32 exec_lo, exec_lo, s17
	s_wait_loadcnt 0x0
	v_and_b32_e32 v54, 0xff, v2
	v_dual_mov_b32 v117, 0 :: v_dual_mov_b32 v118, 0
	s_mov_b32 s7, exec_lo
	v_cmpx_ne_u16_e32 0, v54
	s_cbranch_execz .LBB2_439
; %bb.434:                              ;   in Loop: Header=BB2_417 Depth=2
	v_bfrev_b32_e32 v118, 1
	s_mov_b32 s17, exec_lo
	v_cmpx_ne_u16_e32 0x80, v54
	s_cbranch_execz .LBB2_438
; %bb.435:                              ;   in Loop: Header=BB2_417 Depth=2
	v_and_b32_e32 v54, 0x7f, v2
	v_mov_b32_e32 v118, 0x7f800001
	s_mov_b32 s18, exec_lo
	s_delay_alu instid0(VALU_DEP_2)
	v_cmpx_ne_u32_e32 0x7f, v54
	s_cbranch_execz .LBB2_437
; %bb.436:                              ;   in Loop: Header=BB2_417 Depth=2
	v_and_b32_e32 v118, 7, v2
	v_cmp_gt_u32_e32 vcc_lo, 8, v54
	s_delay_alu instid0(VALU_DEP_2) | instskip(NEXT) | instid1(VALU_DEP_1)
	v_clz_i32_u32_e32 v118, v118
	v_min_u32_e32 v118, 32, v118
	s_delay_alu instid0(VALU_DEP_1) | instskip(SKIP_2) | instid1(VALU_DEP_1)
	v_subrev_nc_u32_e32 v41, 28, v118
	v_lshrrev_b32_e32 v119, 3, v54
	v_sub_nc_u32_e32 v118, 29, v118
	v_dual_cndmask_b32 v54, v119, v118, vcc_lo :: v_dual_cndmask_b32 v118, 0, v41, vcc_lo
	s_delay_alu instid0(VALU_DEP_1) | instskip(SKIP_1) | instid1(VALU_DEP_1)
	v_lshlrev_b64_e32 v[118:119], v118, v[2:3]
	v_lshlrev_b32_e32 v3, 24, v2
	v_and_b32_e32 v3, 0x80000000, v3
	s_delay_alu instid0(VALU_DEP_3) | instskip(SKIP_1) | instid1(VALU_DEP_2)
	v_lshlrev_b32_e32 v118, 20, v118
	v_lshl_add_u32 v54, v54, 23, 0x3c000000
	v_and_b32_e32 v118, 0x700000, v118
	s_delay_alu instid0(VALU_DEP_1)
	v_or3_b32 v118, v118, v3, v54
.LBB2_437:                              ;   in Loop: Header=BB2_417 Depth=2
	s_or_b32 exec_lo, exec_lo, s18
.LBB2_438:                              ;   in Loop: Header=BB2_417 Depth=2
	s_delay_alu instid0(SALU_CYCLE_1)
	s_or_b32 exec_lo, exec_lo, s17
.LBB2_439:                              ;   in Loop: Header=BB2_417 Depth=2
	s_delay_alu instid0(SALU_CYCLE_1) | instskip(SKIP_2) | instid1(VALU_DEP_1)
	s_or_b32 exec_lo, exec_lo, s7
	v_lshlrev_b32_e32 v46, 3, v112
	s_mov_b32 s7, exec_lo
	v_alignbit_b32 v54, v45, v40, v46
	s_delay_alu instid0(VALU_DEP_1) | instskip(NEXT) | instid1(VALU_DEP_1)
	v_and_b32_e32 v3, 0xff, v54
	v_cmpx_ne_u16_e32 0, v3
	s_cbranch_execz .LBB2_445
; %bb.440:                              ;   in Loop: Header=BB2_417 Depth=2
	v_bfrev_b32_e32 v117, 1
	s_mov_b32 s17, exec_lo
	v_cmpx_ne_u16_e32 0x80, v3
	s_cbranch_execz .LBB2_444
; %bb.441:                              ;   in Loop: Header=BB2_417 Depth=2
	v_and_b32_e32 v3, 0x7f, v54
	v_mov_b32_e32 v117, 0x7f800001
	s_mov_b32 s18, exec_lo
	s_delay_alu instid0(VALU_DEP_2)
	v_cmpx_ne_u32_e32 0x7f, v3
	s_cbranch_execz .LBB2_443
; %bb.442:                              ;   in Loop: Header=BB2_417 Depth=2
	v_dual_lshrrev_b32 v119, 3, v3 :: v_dual_bitop2_b32 v117, 7, v54 bitop3:0x40
	v_cmp_gt_u32_e32 vcc_lo, 8, v3
	s_delay_alu instid0(VALU_DEP_2) | instskip(NEXT) | instid1(VALU_DEP_1)
	v_clz_i32_u32_e32 v117, v117
	v_min_u32_e32 v117, 32, v117
	s_delay_alu instid0(VALU_DEP_1) | instskip(SKIP_1) | instid1(VALU_DEP_1)
	v_subrev_nc_u32_e32 v40, 28, v117
	v_sub_nc_u32_e32 v117, 29, v117
	v_dual_cndmask_b32 v3, v119, v117, vcc_lo :: v_dual_cndmask_b32 v117, 0, v40, vcc_lo
	s_delay_alu instid0(VALU_DEP_1) | instskip(NEXT) | instid1(VALU_DEP_2)
	v_lshl_add_u32 v3, v3, 23, 0x3c000000
	v_lshlrev_b64_e32 v[40:41], v117, v[54:55]
	v_lshlrev_b32_e32 v117, 24, v54
	s_delay_alu instid0(VALU_DEP_1) | instskip(NEXT) | instid1(VALU_DEP_3)
	v_and_b32_e32 v117, 0x80000000, v117
	v_lshlrev_b32_e32 v119, 20, v40
	s_delay_alu instid0(VALU_DEP_1) | instskip(NEXT) | instid1(VALU_DEP_1)
	v_and_b32_e32 v119, 0x700000, v119
	v_or3_b32 v117, v119, v117, v3
.LBB2_443:                              ;   in Loop: Header=BB2_417 Depth=2
	s_or_b32 exec_lo, exec_lo, s18
.LBB2_444:                              ;   in Loop: Header=BB2_417 Depth=2
	s_delay_alu instid0(SALU_CYCLE_1)
	s_or_b32 exec_lo, exec_lo, s17
.LBB2_445:                              ;   in Loop: Header=BB2_417 Depth=2
	s_delay_alu instid0(SALU_CYCLE_1) | instskip(NEXT) | instid1(VALU_DEP_1)
	s_or_b32 exec_lo, exec_lo, s7
	v_dual_add_f32 v118, v118, v117 :: v_dual_mov_b32 v41, v55
                                        ; implicit-def: $vgpr117
	s_mov_b32 s7, exec_lo
	s_delay_alu instid0(VALU_DEP_1) | instskip(SKIP_1) | instid1(VALU_DEP_2)
	v_and_b32_e32 v40, 0x7f800000, v118
	v_lshrrev_b32_e32 v3, 24, v118
	v_cmpx_ne_u64_e32 0x7f800000, v[40:41]
	s_xor_b32 s17, exec_lo, s7
	s_cbranch_execz .LBB2_459
; %bb.446:                              ;   in Loop: Header=BB2_417 Depth=2
	v_and_b32_e32 v40, 0x7fffffff, v118
	v_mov_b32_e32 v41, v55
	v_and_b32_e32 v3, 0x80, v3
                                        ; implicit-def: $vgpr117
	s_mov_b32 s7, exec_lo
	s_delay_alu instid0(VALU_DEP_2)
	v_cmpx_gt_u64_e32 0x43e00001, v[40:41]
	s_xor_b32 s18, exec_lo, s7
	s_cbranch_execz .LBB2_456
; %bb.447:                              ;   in Loop: Header=BB2_417 Depth=2
	v_mov_b32_e32 v117, 0
	s_mov_b32 s19, exec_lo
	v_cmpx_ne_u32_e32 0, v118
	s_cbranch_execz .LBB2_455
; %bb.448:                              ;   in Loop: Header=BB2_417 Depth=2
	v_bfe_u32 v117, v118, 23, 8
	v_and_b32_e32 v40, 0x7fffff, v118
	s_mov_b32 s20, exec_lo
	s_delay_alu instid0(VALU_DEP_2) | instskip(NEXT) | instid1(VALU_DEP_2)
	v_cmp_gt_u32_e32 vcc_lo, 0x7a, v117
	v_or_b32_e32 v41, 0x800000, v40
	v_sub_nc_u32_e32 v119, 0x79, v117
	s_delay_alu instid0(VALU_DEP_1) | instskip(SKIP_1) | instid1(VALU_DEP_4)
	v_cndmask_b32_e32 v119, 0, v119, vcc_lo
	v_cmp_eq_u32_e32 vcc_lo, 0, v117
	v_dual_cndmask_b32 v40, v41, v40 :: v_dual_mov_b32 v41, v55
	s_delay_alu instid0(VALU_DEP_3) | instskip(NEXT) | instid1(VALU_DEP_1)
	v_cndmask_b32_e64 v43, v119, 0x78, vcc_lo
	v_dual_add_nc_u32 v118, 20, v43 :: v_dual_add_nc_u32 v47, 19, v43
	s_delay_alu instid0(VALU_DEP_1) | instskip(NEXT) | instid1(VALU_DEP_2)
	v_lshlrev_b64_e64 v[118:119], v118, -1
	v_lshlrev_b64_e64 v[58:59], v47, 1
	s_delay_alu instid0(VALU_DEP_2) | instskip(NEXT) | instid1(VALU_DEP_3)
	v_bfi_b32 v61, v119, 0, 0
	v_bfi_b32 v60, v118, 0, v40
	v_lshrrev_b64 v[118:119], v43, v[40:41]
	s_delay_alu instid0(VALU_DEP_1) | instskip(NEXT) | instid1(VALU_DEP_3)
	v_mov_b64_e32 v[40:41], v[118:119]
	v_cmpx_eq_u64_e64 v[60:61], v[58:59]
; %bb.449:                              ;   in Loop: Header=BB2_417 Depth=2
	v_bfe_u32 v40, v118, 20, 1
	v_mov_b32_e32 v41, v55
	s_delay_alu instid0(VALU_DEP_1) | instskip(NEXT) | instid1(VALU_DEP_1)
	v_add_nc_u64_e32 v[40:41], v[118:119], v[40:41]
	v_add_nc_u64_e32 v[40:41], -1, v[40:41]
; %bb.450:                              ;   in Loop: Header=BB2_417 Depth=2
	s_or_b32 exec_lo, exec_lo, s20
	v_add_nc_u32_e32 v117, 0xffffff81, v117
	v_lshrrev_b32_e32 v119, 23, v118
	s_mov_b32 s7, exec_lo
	s_delay_alu instid0(VALU_DEP_2) | instskip(NEXT) | instid1(VALU_DEP_1)
	v_cndmask_b32_e64 v117, v117, 0xffffff82, vcc_lo
	v_add3_u32 v41, v43, v117, v119
	v_and_b32_e32 v117, 0xfffff, v40
	s_delay_alu instid0(VALU_DEP_2) | instskip(NEXT) | instid1(VALU_DEP_2)
	v_dual_mov_b32 v119, v55 :: v_dual_add_nc_u32 v40, 6, v41
	v_add_nc_u32_e32 v118, v117, v118
                                        ; implicit-def: $vgpr117
	s_delay_alu instid0(VALU_DEP_2)
	v_cmpx_ne_u32_e32 0, v40
	s_xor_b32 s7, exec_lo, s7
; %bb.451:                              ;   in Loop: Header=BB2_417 Depth=2
	s_delay_alu instid0(VALU_DEP_2) | instskip(SKIP_1) | instid1(VALU_DEP_1)
	v_cmp_lt_u64_e32 vcc_lo, 0xffffff, v[118:119]
	v_add_nc_u32_e32 v117, 7, v41
	v_cndmask_b32_e32 v117, v40, v117, vcc_lo
	v_cndmask_b32_e64 v40, 0, 1, vcc_lo
	s_delay_alu instid0(VALU_DEP_1)
	v_lshrrev_b64 v[118:119], v40, v[118:119]
; %bb.452:                              ;   in Loop: Header=BB2_417 Depth=2
	s_and_not1_saveexec_b32 s7, s7
; %bb.453:                              ;   in Loop: Header=BB2_417 Depth=2
	s_delay_alu instid0(VALU_DEP_1)
	v_bfe_u32 v117, v118, 23, 1
; %bb.454:                              ;   in Loop: Header=BB2_417 Depth=2
	s_or_b32 exec_lo, exec_lo, s7
	s_delay_alu instid0(VALU_DEP_2) | instskip(NEXT) | instid1(VALU_DEP_2)
	v_lshrrev_b64 v[118:119], 20, v[118:119]
	v_cmp_gt_i32_e32 vcc_lo, 16, v117
	v_min_i32_e32 v40, 15, v117
	v_cmp_eq_u32_e64 s7, 0, v117
	s_delay_alu instid0(VALU_DEP_2) | instskip(SKIP_1) | instid1(VALU_DEP_2)
	v_dual_cndmask_b32 v119, 0, v119 :: v_dual_lshlrev_b32 v40, 3, v40
	v_cndmask_b32_e32 v118, 7, v118, vcc_lo
	v_and_b32_e32 v40, 0xf8, v40
	s_delay_alu instid0(VALU_DEP_2) | instskip(NEXT) | instid1(VALU_DEP_2)
	v_cmp_eq_u64_e32 vcc_lo, 0, v[118:119]
	v_and_or_b32 v117, v118, 7, v40
	s_and_b32 s7, s7, vcc_lo
	s_delay_alu instid0(VALU_DEP_1) | instid1(SALU_CYCLE_1)
	v_cndmask_b32_e64 v117, v117, 0, s7
	s_delay_alu instid0(VALU_DEP_1)
	v_or_b32_e32 v117, v117, v3
.LBB2_455:                              ;   in Loop: Header=BB2_417 Depth=2
	s_or_b32 exec_lo, exec_lo, s19
                                        ; implicit-def: $vgpr3
.LBB2_456:                              ;   in Loop: Header=BB2_417 Depth=2
	s_and_not1_saveexec_b32 s7, s18
; %bb.457:                              ;   in Loop: Header=BB2_417 Depth=2
	v_or_b32_e32 v117, 0x7e, v3
; %bb.458:                              ;   in Loop: Header=BB2_417 Depth=2
	s_or_b32 exec_lo, exec_lo, s7
                                        ; implicit-def: $vgpr3
.LBB2_459:                              ;   in Loop: Header=BB2_417 Depth=2
	s_and_not1_saveexec_b32 s7, s17
; %bb.460:                              ;   in Loop: Header=BB2_417 Depth=2
	v_or_b32_e32 v117, 0x7f, v3
; %bb.461:                              ;   in Loop: Header=BB2_417 Depth=2
	s_or_b32 exec_lo, exec_lo, s7
	v_lshrrev_b16 v118, 8, v2
	v_dual_mov_b32 v3, 0 :: v_dual_mov_b32 v40, 0
	s_mov_b32 s7, exec_lo
	s_delay_alu instid0(VALU_DEP_2)
	v_cmpx_ne_u16_e32 0, v118
	s_cbranch_execz .LBB2_469
; %bb.462:                              ;   in Loop: Header=BB2_417 Depth=2
	v_bfrev_b32_e32 v40, 1
	s_mov_b32 s17, exec_lo
	v_cmpx_ne_u16_e32 0x80, v118
	s_cbranch_execz .LBB2_468
; %bb.463:                              ;   in Loop: Header=BB2_417 Depth=2
	v_and_b32_e32 v118, 0xffff, v118
	v_mov_b32_e32 v40, 0x7f800001
	s_mov_b32 s18, exec_lo
	s_delay_alu instid0(VALU_DEP_2) | instskip(NEXT) | instid1(VALU_DEP_1)
	v_and_b32_e32 v41, 0x7f, v118
	v_cmpx_ne_u32_e32 0x7f, v41
	s_cbranch_execz .LBB2_467
; %bb.464:                              ;   in Loop: Header=BB2_417 Depth=2
	v_dual_mov_b32 v119, v55 :: v_dual_bitop2_b32 v118, 7, v118 bitop3:0x40
	v_lshrrev_b32_e32 v40, 3, v41
	s_mov_b32 s19, exec_lo
	v_cmpx_gt_u32_e32 8, v41
; %bb.465:                              ;   in Loop: Header=BB2_417 Depth=2
	s_delay_alu instid0(VALU_DEP_3) | instskip(NEXT) | instid1(VALU_DEP_1)
	v_clz_i32_u32_e32 v40, v118
	v_min_u32_e32 v40, 32, v40
	s_delay_alu instid0(VALU_DEP_1) | instskip(NEXT) | instid1(VALU_DEP_1)
	v_subrev_nc_u32_e32 v41, 28, v40
	v_lshlrev_b64_e32 v[118:119], v41, v[118:119]
	s_delay_alu instid0(VALU_DEP_1)
	v_dual_sub_nc_u32 v40, 29, v40 :: v_dual_bitop2_b32 v118, 7, v118 bitop3:0x40
; %bb.466:                              ;   in Loop: Header=BB2_417 Depth=2
	s_or_b32 exec_lo, exec_lo, s19
	v_lshlrev_b32_e32 v119, 16, v2
	s_delay_alu instid0(VALU_DEP_2) | instskip(NEXT) | instid1(VALU_DEP_3)
	v_lshlrev_b32_e32 v118, 20, v118
	v_lshl_add_u32 v40, v40, 23, 0x3c000000
	s_delay_alu instid0(VALU_DEP_3) | instskip(NEXT) | instid1(VALU_DEP_1)
	v_and_b32_e32 v119, 0x80000000, v119
	v_or3_b32 v40, v118, v119, v40
.LBB2_467:                              ;   in Loop: Header=BB2_417 Depth=2
	s_or_b32 exec_lo, exec_lo, s18
.LBB2_468:                              ;   in Loop: Header=BB2_417 Depth=2
	s_delay_alu instid0(SALU_CYCLE_1)
	s_or_b32 exec_lo, exec_lo, s17
.LBB2_469:                              ;   in Loop: Header=BB2_417 Depth=2
	s_delay_alu instid0(SALU_CYCLE_1) | instskip(SKIP_2) | instid1(VALU_DEP_1)
	s_or_b32 exec_lo, exec_lo, s7
	v_lshrrev_b16 v118, 8, v54
	s_mov_b32 s7, exec_lo
	v_cmpx_ne_u16_e32 0, v118
	s_cbranch_execz .LBB2_477
; %bb.470:                              ;   in Loop: Header=BB2_417 Depth=2
	v_bfrev_b32_e32 v3, 1
	s_mov_b32 s17, exec_lo
	v_cmpx_ne_u16_e32 0x80, v118
	s_cbranch_execz .LBB2_476
; %bb.471:                              ;   in Loop: Header=BB2_417 Depth=2
	v_and_b32_e32 v118, 0xffff, v118
	v_mov_b32_e32 v3, 0x7f800001
	s_mov_b32 s18, exec_lo
	s_delay_alu instid0(VALU_DEP_2) | instskip(NEXT) | instid1(VALU_DEP_1)
	v_and_b32_e32 v41, 0x7f, v118
	v_cmpx_ne_u32_e32 0x7f, v41
	s_cbranch_execz .LBB2_475
; %bb.472:                              ;   in Loop: Header=BB2_417 Depth=2
	v_dual_mov_b32 v119, v55 :: v_dual_bitop2_b32 v118, 7, v118 bitop3:0x40
	v_lshrrev_b32_e32 v3, 3, v41
	s_mov_b32 s19, exec_lo
	v_cmpx_gt_u32_e32 8, v41
; %bb.473:                              ;   in Loop: Header=BB2_417 Depth=2
	s_delay_alu instid0(VALU_DEP_3) | instskip(NEXT) | instid1(VALU_DEP_1)
	v_clz_i32_u32_e32 v3, v118
	v_min_u32_e32 v3, 32, v3
	s_delay_alu instid0(VALU_DEP_1) | instskip(NEXT) | instid1(VALU_DEP_1)
	v_subrev_nc_u32_e32 v41, 28, v3
	v_lshlrev_b64_e32 v[118:119], v41, v[118:119]
	s_delay_alu instid0(VALU_DEP_1)
	v_dual_sub_nc_u32 v3, 29, v3 :: v_dual_bitop2_b32 v118, 7, v118 bitop3:0x40
; %bb.474:                              ;   in Loop: Header=BB2_417 Depth=2
	s_or_b32 exec_lo, exec_lo, s19
	v_lshlrev_b32_e32 v119, 16, v54
	s_delay_alu instid0(VALU_DEP_2) | instskip(NEXT) | instid1(VALU_DEP_3)
	v_lshlrev_b32_e32 v118, 20, v118
	v_lshl_add_u32 v3, v3, 23, 0x3c000000
	s_delay_alu instid0(VALU_DEP_3) | instskip(NEXT) | instid1(VALU_DEP_1)
	v_and_b32_e32 v119, 0x80000000, v119
	v_or3_b32 v3, v118, v119, v3
.LBB2_475:                              ;   in Loop: Header=BB2_417 Depth=2
	s_or_b32 exec_lo, exec_lo, s18
.LBB2_476:                              ;   in Loop: Header=BB2_417 Depth=2
	s_delay_alu instid0(SALU_CYCLE_1)
	s_or_b32 exec_lo, exec_lo, s17
.LBB2_477:                              ;   in Loop: Header=BB2_417 Depth=2
	s_delay_alu instid0(SALU_CYCLE_1) | instskip(NEXT) | instid1(VALU_DEP_1)
	s_or_b32 exec_lo, exec_lo, s7
	v_dual_add_f32 v118, v40, v3 :: v_dual_mov_b32 v41, v55
                                        ; implicit-def: $vgpr43
	s_mov_b32 s7, exec_lo
	s_delay_alu instid0(VALU_DEP_1) | instskip(SKIP_1) | instid1(VALU_DEP_2)
	v_and_b32_e32 v40, 0x7f800000, v118
	v_lshrrev_b32_e32 v3, 24, v118
	v_cmpx_ne_u64_e32 0x7f800000, v[40:41]
	s_xor_b32 s17, exec_lo, s7
	s_cbranch_execz .LBB2_491
; %bb.478:                              ;   in Loop: Header=BB2_417 Depth=2
	v_and_b32_e32 v40, 0x7fffffff, v118
	v_mov_b32_e32 v41, v55
	v_and_b32_e32 v3, 0x80, v3
                                        ; implicit-def: $vgpr43
	s_mov_b32 s7, exec_lo
	s_delay_alu instid0(VALU_DEP_2)
	v_cmpx_gt_u64_e32 0x43e00001, v[40:41]
	s_xor_b32 s18, exec_lo, s7
	s_cbranch_execz .LBB2_488
; %bb.479:                              ;   in Loop: Header=BB2_417 Depth=2
	v_mov_b32_e32 v43, 0
	s_mov_b32 s19, exec_lo
	v_cmpx_ne_u32_e32 0, v118
	s_cbranch_execz .LBB2_487
; %bb.480:                              ;   in Loop: Header=BB2_417 Depth=2
	v_bfe_u32 v43, v118, 23, 8
	v_and_b32_e32 v40, 0x7fffff, v118
	s_mov_b32 s20, exec_lo
	s_delay_alu instid0(VALU_DEP_2) | instskip(NEXT) | instid1(VALU_DEP_2)
	v_cmp_gt_u32_e32 vcc_lo, 0x7a, v43
	v_or_b32_e32 v41, 0x800000, v40
	v_sub_nc_u32_e32 v119, 0x79, v43
	s_delay_alu instid0(VALU_DEP_1) | instskip(SKIP_1) | instid1(VALU_DEP_4)
	v_cndmask_b32_e32 v119, 0, v119, vcc_lo
	v_cmp_eq_u32_e32 vcc_lo, 0, v43
	v_dual_cndmask_b32 v40, v41, v40 :: v_dual_mov_b32 v41, v55
	s_delay_alu instid0(VALU_DEP_3) | instskip(NEXT) | instid1(VALU_DEP_1)
	v_cndmask_b32_e64 v47, v119, 0x78, vcc_lo
	v_dual_add_nc_u32 v118, 20, v47 :: v_dual_add_nc_u32 v58, 19, v47
	s_delay_alu instid0(VALU_DEP_1) | instskip(NEXT) | instid1(VALU_DEP_2)
	v_lshlrev_b64_e64 v[118:119], v118, -1
	v_lshlrev_b64_e64 v[58:59], v58, 1
	s_delay_alu instid0(VALU_DEP_2) | instskip(NEXT) | instid1(VALU_DEP_3)
	v_bfi_b32 v61, v119, 0, 0
	v_bfi_b32 v60, v118, 0, v40
	v_lshrrev_b64 v[118:119], v47, v[40:41]
	s_delay_alu instid0(VALU_DEP_1) | instskip(NEXT) | instid1(VALU_DEP_3)
	v_mov_b64_e32 v[40:41], v[118:119]
	v_cmpx_eq_u64_e64 v[60:61], v[58:59]
; %bb.481:                              ;   in Loop: Header=BB2_417 Depth=2
	v_bfe_u32 v40, v118, 20, 1
	v_mov_b32_e32 v41, v55
	s_delay_alu instid0(VALU_DEP_1) | instskip(NEXT) | instid1(VALU_DEP_1)
	v_add_nc_u64_e32 v[40:41], v[118:119], v[40:41]
	v_add_nc_u64_e32 v[40:41], -1, v[40:41]
; %bb.482:                              ;   in Loop: Header=BB2_417 Depth=2
	s_or_b32 exec_lo, exec_lo, s20
	v_add_nc_u32_e32 v119, 0xffffff81, v43
	v_lshrrev_b32_e32 v41, 23, v118
	s_mov_b32 s7, exec_lo
	s_delay_alu instid0(VALU_DEP_2) | instskip(NEXT) | instid1(VALU_DEP_1)
	v_cndmask_b32_e64 v119, v119, 0xffffff82, vcc_lo
	v_add3_u32 v41, v47, v119, v41
	v_and_b32_e32 v119, 0xfffff, v40
                                        ; implicit-def: $vgpr40
	s_delay_alu instid0(VALU_DEP_1) | instskip(SKIP_1) | instid1(VALU_DEP_2)
	v_dual_add_nc_u32 v43, 6, v41 :: v_dual_add_nc_u32 v118, v119, v118
	v_mov_b32_e32 v119, v55
	v_cmpx_ne_u32_e32 0, v43
	s_xor_b32 s7, exec_lo, s7
; %bb.483:                              ;   in Loop: Header=BB2_417 Depth=2
	s_delay_alu instid0(VALU_DEP_2) | instskip(SKIP_2) | instid1(VALU_DEP_2)
	v_cmp_lt_u64_e32 vcc_lo, 0xffffff, v[118:119]
	v_add_nc_u32_e32 v40, 7, v41
	v_cndmask_b32_e64 v41, 0, 1, vcc_lo
	v_cndmask_b32_e32 v40, v43, v40, vcc_lo
	s_delay_alu instid0(VALU_DEP_2)
	v_lshrrev_b64 v[118:119], v41, v[118:119]
; %bb.484:                              ;   in Loop: Header=BB2_417 Depth=2
	s_and_not1_saveexec_b32 s7, s7
; %bb.485:                              ;   in Loop: Header=BB2_417 Depth=2
	s_delay_alu instid0(VALU_DEP_1)
	v_bfe_u32 v40, v118, 23, 1
; %bb.486:                              ;   in Loop: Header=BB2_417 Depth=2
	s_or_b32 exec_lo, exec_lo, s7
	s_delay_alu instid0(VALU_DEP_2) | instskip(NEXT) | instid1(VALU_DEP_2)
	v_lshrrev_b64 v[118:119], 20, v[118:119]
	v_cmp_gt_i32_e32 vcc_lo, 16, v40
	v_min_i32_e32 v41, 15, v40
	v_cmp_eq_u32_e64 s7, 0, v40
	s_delay_alu instid0(VALU_DEP_2) | instskip(SKIP_1) | instid1(VALU_DEP_2)
	v_dual_cndmask_b32 v119, 0, v119, vcc_lo :: v_dual_lshlrev_b32 v41, 3, v41
	v_cndmask_b32_e32 v118, 7, v118, vcc_lo
	v_and_b32_e32 v41, 0xf8, v41
	s_delay_alu instid0(VALU_DEP_2) | instskip(NEXT) | instid1(VALU_DEP_2)
	v_cmp_eq_u64_e32 vcc_lo, 0, v[118:119]
	v_and_or_b32 v118, v118, 7, v41
	s_and_b32 s7, s7, vcc_lo
	s_delay_alu instid0(VALU_DEP_1) | instid1(SALU_CYCLE_1)
	v_cndmask_b32_e64 v118, v118, 0, s7
	s_delay_alu instid0(VALU_DEP_1)
	v_or_b32_e32 v43, v118, v3
.LBB2_487:                              ;   in Loop: Header=BB2_417 Depth=2
	s_or_b32 exec_lo, exec_lo, s19
                                        ; implicit-def: $vgpr3
.LBB2_488:                              ;   in Loop: Header=BB2_417 Depth=2
	s_and_not1_saveexec_b32 s7, s18
; %bb.489:                              ;   in Loop: Header=BB2_417 Depth=2
	v_or_b32_e32 v43, 0x7e, v3
; %bb.490:                              ;   in Loop: Header=BB2_417 Depth=2
	s_or_b32 exec_lo, exec_lo, s7
                                        ; implicit-def: $vgpr3
.LBB2_491:                              ;   in Loop: Header=BB2_417 Depth=2
	s_and_not1_saveexec_b32 s7, s17
; %bb.492:                              ;   in Loop: Header=BB2_417 Depth=2
	v_or_b32_e32 v43, 0x7f, v3
; %bb.493:                              ;   in Loop: Header=BB2_417 Depth=2
	s_or_b32 exec_lo, exec_lo, s7
	v_dual_lshrrev_b32 v41, 16, v2 :: v_dual_mov_b32 v3, 0
	v_mov_b32_e32 v40, 0
	s_mov_b32 s7, exec_lo
	s_delay_alu instid0(VALU_DEP_2) | instskip(NEXT) | instid1(VALU_DEP_1)
	v_and_b32_e32 v118, 0xff, v41
	v_cmpx_ne_u16_e32 0, v118
	s_cbranch_execz .LBB2_501
; %bb.494:                              ;   in Loop: Header=BB2_417 Depth=2
	v_bfrev_b32_e32 v40, 1
	s_mov_b32 s17, exec_lo
	v_cmpx_ne_u16_e32 0x80, v118
	s_cbranch_execz .LBB2_500
; %bb.495:                              ;   in Loop: Header=BB2_417 Depth=2
	v_bfe_u32 v47, v2, 16, 7
	v_mov_b32_e32 v40, 0x7f800001
	s_mov_b32 s18, exec_lo
	s_delay_alu instid0(VALU_DEP_2)
	v_cmpx_ne_u32_e32 0x7f, v47
	s_cbranch_execz .LBB2_499
; %bb.496:                              ;   in Loop: Header=BB2_417 Depth=2
	v_dual_mov_b32 v119, v55 :: v_dual_bitop2_b32 v118, 7, v41 bitop3:0x40
	v_lshrrev_b32_e32 v40, 3, v47
	s_mov_b32 s19, exec_lo
	v_cmpx_gt_u32_e32 8, v47
; %bb.497:                              ;   in Loop: Header=BB2_417 Depth=2
	s_delay_alu instid0(VALU_DEP_3) | instskip(NEXT) | instid1(VALU_DEP_1)
	v_clz_i32_u32_e32 v40, v118
	v_min_u32_e32 v40, 32, v40
	s_delay_alu instid0(VALU_DEP_1) | instskip(NEXT) | instid1(VALU_DEP_1)
	v_subrev_nc_u32_e32 v47, 28, v40
	v_lshlrev_b64_e32 v[118:119], v47, v[118:119]
	s_delay_alu instid0(VALU_DEP_1)
	v_dual_sub_nc_u32 v40, 29, v40 :: v_dual_bitop2_b32 v118, 7, v118 bitop3:0x40
; %bb.498:                              ;   in Loop: Header=BB2_417 Depth=2
	s_or_b32 exec_lo, exec_lo, s19
	s_delay_alu instid0(VALU_DEP_1) | instskip(NEXT) | instid1(VALU_DEP_2)
	v_dual_lshlrev_b32 v119, 24, v41 :: v_dual_lshlrev_b32 v118, 20, v118
	v_lshl_add_u32 v40, v40, 23, 0x3c000000
	s_delay_alu instid0(VALU_DEP_2) | instskip(NEXT) | instid1(VALU_DEP_1)
	v_and_b32_e32 v119, 0x80000000, v119
	v_or3_b32 v40, v118, v119, v40
.LBB2_499:                              ;   in Loop: Header=BB2_417 Depth=2
	s_or_b32 exec_lo, exec_lo, s18
.LBB2_500:                              ;   in Loop: Header=BB2_417 Depth=2
	s_delay_alu instid0(SALU_CYCLE_1)
	s_or_b32 exec_lo, exec_lo, s17
.LBB2_501:                              ;   in Loop: Header=BB2_417 Depth=2
	s_delay_alu instid0(SALU_CYCLE_1) | instskip(SKIP_2) | instid1(VALU_DEP_1)
	s_or_b32 exec_lo, exec_lo, s7
	v_lshrrev_b32_e32 v118, 16, v54
	s_mov_b32 s7, exec_lo
	v_and_b32_e32 v119, 0xff, v118
	s_delay_alu instid0(VALU_DEP_1)
	v_cmpx_ne_u16_e32 0, v119
	s_cbranch_execz .LBB2_509
; %bb.502:                              ;   in Loop: Header=BB2_417 Depth=2
	v_bfrev_b32_e32 v3, 1
	s_mov_b32 s17, exec_lo
	v_cmpx_ne_u16_e32 0x80, v119
	s_cbranch_execz .LBB2_508
; %bb.503:                              ;   in Loop: Header=BB2_417 Depth=2
	v_bfe_u32 v41, v54, 16, 7
	v_mov_b32_e32 v3, 0x7f800001
	s_mov_b32 s18, exec_lo
	s_delay_alu instid0(VALU_DEP_2)
	v_cmpx_ne_u32_e32 0x7f, v41
	s_cbranch_execz .LBB2_507
; %bb.504:                              ;   in Loop: Header=BB2_417 Depth=2
	v_dual_mov_b32 v119, v55 :: v_dual_bitop2_b32 v118, 7, v118 bitop3:0x40
	v_lshrrev_b32_e32 v3, 3, v41
	s_mov_b32 s19, exec_lo
	v_cmpx_gt_u32_e32 8, v41
; %bb.505:                              ;   in Loop: Header=BB2_417 Depth=2
	s_delay_alu instid0(VALU_DEP_3) | instskip(NEXT) | instid1(VALU_DEP_1)
	v_clz_i32_u32_e32 v3, v118
	v_min_u32_e32 v3, 32, v3
	s_delay_alu instid0(VALU_DEP_1) | instskip(NEXT) | instid1(VALU_DEP_1)
	v_subrev_nc_u32_e32 v41, 28, v3
	v_lshlrev_b64_e32 v[118:119], v41, v[118:119]
	s_delay_alu instid0(VALU_DEP_1)
	v_dual_sub_nc_u32 v3, 29, v3 :: v_dual_bitop2_b32 v118, 7, v118 bitop3:0x40
; %bb.506:                              ;   in Loop: Header=BB2_417 Depth=2
	s_or_b32 exec_lo, exec_lo, s19
	v_lshlrev_b32_e32 v119, 8, v54
	s_delay_alu instid0(VALU_DEP_2) | instskip(NEXT) | instid1(VALU_DEP_3)
	v_lshlrev_b32_e32 v118, 20, v118
	v_lshl_add_u32 v3, v3, 23, 0x3c000000
	s_delay_alu instid0(VALU_DEP_3) | instskip(NEXT) | instid1(VALU_DEP_1)
	v_and_b32_e32 v119, 0x80000000, v119
	v_or3_b32 v3, v118, v119, v3
.LBB2_507:                              ;   in Loop: Header=BB2_417 Depth=2
	s_or_b32 exec_lo, exec_lo, s18
.LBB2_508:                              ;   in Loop: Header=BB2_417 Depth=2
	s_delay_alu instid0(SALU_CYCLE_1)
	s_or_b32 exec_lo, exec_lo, s17
.LBB2_509:                              ;   in Loop: Header=BB2_417 Depth=2
	s_delay_alu instid0(SALU_CYCLE_1) | instskip(NEXT) | instid1(VALU_DEP_1)
	s_or_b32 exec_lo, exec_lo, s7
	v_dual_add_f32 v118, v40, v3 :: v_dual_mov_b32 v41, v55
	s_delay_alu instid0(VALU_DEP_1) | instskip(SKIP_1) | instid1(VALU_DEP_2)
	v_and_b32_e32 v40, 0x7f800000, v118
	v_lshrrev_b32_e32 v3, 24, v118
	v_cmp_ne_u64_e32 vcc_lo, 0x7f800000, v[40:41]
                                        ; implicit-def: $vgpr40
	s_and_saveexec_b32 s7, vcc_lo
	s_delay_alu instid0(SALU_CYCLE_1)
	s_xor_b32 s17, exec_lo, s7
	s_cbranch_execz .LBB2_523
; %bb.510:                              ;   in Loop: Header=BB2_417 Depth=2
	v_and_b32_e32 v40, 0x7fffffff, v118
	v_mov_b32_e32 v41, v55
	v_and_b32_e32 v3, 0x80, v3
	s_delay_alu instid0(VALU_DEP_2) | instskip(SKIP_1) | instid1(SALU_CYCLE_1)
	v_cmp_gt_u64_e32 vcc_lo, 0x43e00001, v[40:41]
                                        ; implicit-def: $vgpr40
	s_and_saveexec_b32 s7, vcc_lo
	s_xor_b32 s18, exec_lo, s7
	s_cbranch_execz .LBB2_520
; %bb.511:                              ;   in Loop: Header=BB2_417 Depth=2
	v_mov_b32_e32 v40, 0
	s_mov_b32 s19, exec_lo
	v_cmpx_ne_u32_e32 0, v118
	s_cbranch_execz .LBB2_519
; %bb.512:                              ;   in Loop: Header=BB2_417 Depth=2
	v_bfe_u32 v47, v118, 23, 8
	v_and_b32_e32 v40, 0x7fffff, v118
	s_mov_b32 s20, exec_lo
	s_delay_alu instid0(VALU_DEP_2) | instskip(NEXT) | instid1(VALU_DEP_2)
	v_cmp_gt_u32_e32 vcc_lo, 0x7a, v47
	v_or_b32_e32 v41, 0x800000, v40
	v_sub_nc_u32_e32 v119, 0x79, v47
	s_delay_alu instid0(VALU_DEP_1) | instskip(SKIP_1) | instid1(VALU_DEP_2)
	v_cndmask_b32_e32 v119, 0, v119, vcc_lo
	v_cmp_eq_u32_e32 vcc_lo, 0, v47
	v_cndmask_b32_e64 v58, v119, 0x78, vcc_lo
	v_dual_cndmask_b32 v40, v41, v40 :: v_dual_mov_b32 v41, v55
	s_delay_alu instid0(VALU_DEP_2) | instskip(NEXT) | instid1(VALU_DEP_1)
	v_dual_add_nc_u32 v59, 19, v58 :: v_dual_add_nc_u32 v118, 20, v58
	v_lshlrev_b64_e64 v[60:61], v59, 1
	s_delay_alu instid0(VALU_DEP_2) | instskip(NEXT) | instid1(VALU_DEP_1)
	v_lshlrev_b64_e64 v[118:119], v118, -1
	v_bfi_b32 v63, v119, 0, 0
	s_delay_alu instid0(VALU_DEP_2) | instskip(SKIP_1) | instid1(VALU_DEP_1)
	v_bfi_b32 v62, v118, 0, v40
	v_lshrrev_b64 v[118:119], v58, v[40:41]
	v_mov_b64_e32 v[40:41], v[118:119]
	s_delay_alu instid0(VALU_DEP_3)
	v_cmpx_eq_u64_e64 v[62:63], v[60:61]
; %bb.513:                              ;   in Loop: Header=BB2_417 Depth=2
	v_bfe_u32 v40, v118, 20, 1
	v_mov_b32_e32 v41, v55
	s_delay_alu instid0(VALU_DEP_1) | instskip(NEXT) | instid1(VALU_DEP_1)
	v_add_nc_u64_e32 v[40:41], v[118:119], v[40:41]
	v_add_nc_u64_e32 v[40:41], -1, v[40:41]
; %bb.514:                              ;   in Loop: Header=BB2_417 Depth=2
	s_or_b32 exec_lo, exec_lo, s20
	v_add_nc_u32_e32 v119, 0xffffff81, v47
	v_lshrrev_b32_e32 v41, 23, v118
	s_mov_b32 s7, exec_lo
	s_delay_alu instid0(VALU_DEP_2) | instskip(NEXT) | instid1(VALU_DEP_1)
	v_cndmask_b32_e64 v119, v119, 0xffffff82, vcc_lo
	v_add3_u32 v41, v58, v119, v41
	v_and_b32_e32 v119, 0xfffff, v40
                                        ; implicit-def: $vgpr40
	s_delay_alu instid0(VALU_DEP_1) | instskip(SKIP_1) | instid1(VALU_DEP_2)
	v_dual_add_nc_u32 v47, 6, v41 :: v_dual_add_nc_u32 v118, v119, v118
	v_mov_b32_e32 v119, v55
	v_cmpx_ne_u32_e32 0, v47
	s_xor_b32 s7, exec_lo, s7
; %bb.515:                              ;   in Loop: Header=BB2_417 Depth=2
	s_delay_alu instid0(VALU_DEP_2) | instskip(SKIP_2) | instid1(VALU_DEP_2)
	v_cmp_lt_u64_e32 vcc_lo, 0xffffff, v[118:119]
	v_add_nc_u32_e32 v40, 7, v41
	v_cndmask_b32_e64 v41, 0, 1, vcc_lo
	v_cndmask_b32_e32 v40, v47, v40, vcc_lo
	s_delay_alu instid0(VALU_DEP_2)
	v_lshrrev_b64 v[118:119], v41, v[118:119]
; %bb.516:                              ;   in Loop: Header=BB2_417 Depth=2
	s_and_not1_saveexec_b32 s7, s7
; %bb.517:                              ;   in Loop: Header=BB2_417 Depth=2
	s_delay_alu instid0(VALU_DEP_1)
	v_bfe_u32 v40, v118, 23, 1
; %bb.518:                              ;   in Loop: Header=BB2_417 Depth=2
	s_or_b32 exec_lo, exec_lo, s7
	s_delay_alu instid0(VALU_DEP_2) | instskip(NEXT) | instid1(VALU_DEP_2)
	v_lshrrev_b64 v[118:119], 20, v[118:119]
	v_cmp_gt_i32_e32 vcc_lo, 16, v40
	v_min_i32_e32 v41, 15, v40
	v_cmp_eq_u32_e64 s7, 0, v40
	s_delay_alu instid0(VALU_DEP_2) | instskip(SKIP_1) | instid1(VALU_DEP_2)
	v_dual_cndmask_b32 v119, 0, v119, vcc_lo :: v_dual_lshlrev_b32 v41, 3, v41
	v_cndmask_b32_e32 v118, 7, v118, vcc_lo
	v_and_b32_e32 v41, 0xf8, v41
	s_delay_alu instid0(VALU_DEP_2) | instskip(NEXT) | instid1(VALU_DEP_2)
	v_cmp_eq_u64_e32 vcc_lo, 0, v[118:119]
	v_and_or_b32 v118, v118, 7, v41
	s_and_b32 s7, s7, vcc_lo
	s_delay_alu instid0(VALU_DEP_1) | instid1(SALU_CYCLE_1)
	v_cndmask_b32_e64 v118, v118, 0, s7
	s_delay_alu instid0(VALU_DEP_1)
	v_or_b32_e32 v40, v118, v3
.LBB2_519:                              ;   in Loop: Header=BB2_417 Depth=2
	s_or_b32 exec_lo, exec_lo, s19
                                        ; implicit-def: $vgpr3
.LBB2_520:                              ;   in Loop: Header=BB2_417 Depth=2
	s_and_not1_saveexec_b32 s7, s18
; %bb.521:                              ;   in Loop: Header=BB2_417 Depth=2
	v_or_b32_e32 v40, 0x7e, v3
; %bb.522:                              ;   in Loop: Header=BB2_417 Depth=2
	s_or_b32 exec_lo, exec_lo, s7
                                        ; implicit-def: $vgpr3
.LBB2_523:                              ;   in Loop: Header=BB2_417 Depth=2
	s_and_not1_saveexec_b32 s7, s17
; %bb.524:                              ;   in Loop: Header=BB2_417 Depth=2
	v_or_b32_e32 v40, 0x7f, v3
; %bb.525:                              ;   in Loop: Header=BB2_417 Depth=2
	s_or_b32 exec_lo, exec_lo, s7
	v_dual_mov_b32 v118, 0 :: v_dual_mov_b32 v3, 0
	s_mov_b32 s7, exec_lo
	v_cmpx_lt_u32_e32 0xffffff, v2
	s_cbranch_execz .LBB2_533
; %bb.526:                              ;   in Loop: Header=BB2_417 Depth=2
	v_lshrrev_b32_e32 v119, 24, v2
	v_bfrev_b32_e32 v3, 1
	s_mov_b32 s17, exec_lo
	s_delay_alu instid0(VALU_DEP_2)
	v_cmpx_ne_u32_e32 0x80, v119
	s_cbranch_execz .LBB2_532
; %bb.527:                              ;   in Loop: Header=BB2_417 Depth=2
	v_bfe_u32 v47, v2, 24, 7
	v_mov_b32_e32 v3, 0x7f800001
	s_mov_b32 s18, exec_lo
	s_delay_alu instid0(VALU_DEP_2)
	v_cmpx_ne_u32_e32 0x7f, v47
	s_cbranch_execz .LBB2_531
; %bb.528:                              ;   in Loop: Header=BB2_417 Depth=2
	v_dual_mov_b32 v3, v55 :: v_dual_bitop2_b32 v2, 7, v119 bitop3:0x40
	v_lshrrev_b32_e32 v41, 3, v47
	s_mov_b32 s19, exec_lo
	v_cmpx_gt_u32_e32 8, v47
; %bb.529:                              ;   in Loop: Header=BB2_417 Depth=2
	s_delay_alu instid0(VALU_DEP_3) | instskip(NEXT) | instid1(VALU_DEP_1)
	v_clz_i32_u32_e32 v41, v2
	v_min_u32_e32 v41, 32, v41
	s_delay_alu instid0(VALU_DEP_1) | instskip(NEXT) | instid1(VALU_DEP_1)
	v_subrev_nc_u32_e32 v47, 28, v41
	v_lshlrev_b64_e32 v[2:3], v47, v[2:3]
	s_delay_alu instid0(VALU_DEP_1)
	v_dual_sub_nc_u32 v41, 29, v41 :: v_dual_bitop2_b32 v2, 7, v2 bitop3:0x40
; %bb.530:                              ;   in Loop: Header=BB2_417 Depth=2
	s_or_b32 exec_lo, exec_lo, s19
	s_delay_alu instid0(VALU_DEP_1) | instskip(NEXT) | instid1(VALU_DEP_2)
	v_dual_lshlrev_b32 v3, 24, v119 :: v_dual_lshlrev_b32 v2, 20, v2
	v_lshl_add_u32 v119, v41, 23, 0x3c000000
	s_delay_alu instid0(VALU_DEP_2) | instskip(NEXT) | instid1(VALU_DEP_1)
	v_and_b32_e32 v3, 0x80000000, v3
	v_or3_b32 v3, v2, v3, v119
.LBB2_531:                              ;   in Loop: Header=BB2_417 Depth=2
	s_or_b32 exec_lo, exec_lo, s18
.LBB2_532:                              ;   in Loop: Header=BB2_417 Depth=2
	s_delay_alu instid0(SALU_CYCLE_1)
	s_or_b32 exec_lo, exec_lo, s17
.LBB2_533:                              ;   in Loop: Header=BB2_417 Depth=2
	s_delay_alu instid0(SALU_CYCLE_1) | instskip(NEXT) | instid1(SALU_CYCLE_1)
	s_or_b32 exec_lo, exec_lo, s7
	s_mov_b32 s7, exec_lo
	v_cmpx_lt_u32_e32 0xffffff, v54
	s_cbranch_execz .LBB2_541
; %bb.534:                              ;   in Loop: Header=BB2_417 Depth=2
	v_lshrrev_b32_e32 v2, 24, v54
	v_bfrev_b32_e32 v118, 1
	s_mov_b32 s17, exec_lo
	s_delay_alu instid0(VALU_DEP_2)
	v_cmpx_ne_u32_e32 0x80, v2
	s_cbranch_execz .LBB2_540
; %bb.535:                              ;   in Loop: Header=BB2_417 Depth=2
	v_bfe_u32 v119, v54, 24, 7
	v_mov_b32_e32 v118, 0x7f800001
	s_mov_b32 s18, exec_lo
	s_delay_alu instid0(VALU_DEP_2)
	v_cmpx_ne_u32_e32 0x7f, v119
	s_cbranch_execz .LBB2_539
; %bb.536:                              ;   in Loop: Header=BB2_417 Depth=2
	v_dual_lshrrev_b32 v118, 3, v119 :: v_dual_bitop2_b32 v54, 7, v2 bitop3:0x40
	s_mov_b32 s19, exec_lo
	v_cmpx_gt_u32_e32 8, v119
; %bb.537:                              ;   in Loop: Header=BB2_417 Depth=2
	s_delay_alu instid0(VALU_DEP_2) | instskip(NEXT) | instid1(VALU_DEP_1)
	v_clz_i32_u32_e32 v118, v54
	v_min_u32_e32 v118, 32, v118
	s_delay_alu instid0(VALU_DEP_1) | instskip(SKIP_1) | instid1(VALU_DEP_2)
	v_subrev_nc_u32_e32 v119, 28, v118
	v_sub_nc_u32_e32 v118, 29, v118
	v_lshlrev_b64_e32 v[58:59], v119, v[54:55]
	s_delay_alu instid0(VALU_DEP_1)
	v_and_b32_e32 v54, 7, v58
; %bb.538:                              ;   in Loop: Header=BB2_417 Depth=2
	s_or_b32 exec_lo, exec_lo, s19
	v_lshlrev_b32_e32 v2, 24, v2
	s_delay_alu instid0(VALU_DEP_2) | instskip(SKIP_1) | instid1(VALU_DEP_3)
	v_lshlrev_b32_e32 v54, 20, v54
	v_lshl_add_u32 v118, v118, 23, 0x3c000000
	v_and_b32_e32 v2, 0x80000000, v2
	s_delay_alu instid0(VALU_DEP_1)
	v_or3_b32 v118, v54, v2, v118
.LBB2_539:                              ;   in Loop: Header=BB2_417 Depth=2
	s_or_b32 exec_lo, exec_lo, s18
.LBB2_540:                              ;   in Loop: Header=BB2_417 Depth=2
	s_delay_alu instid0(SALU_CYCLE_1)
	s_or_b32 exec_lo, exec_lo, s17
.LBB2_541:                              ;   in Loop: Header=BB2_417 Depth=2
	s_delay_alu instid0(SALU_CYCLE_1) | instskip(NEXT) | instid1(VALU_DEP_1)
	s_or_b32 exec_lo, exec_lo, s7
	v_add_f32_e32 v2, v3, v118
                                        ; implicit-def: $vgpr41
	s_mov_b32 s7, exec_lo
	s_delay_alu instid0(VALU_DEP_1) | instskip(SKIP_1) | instid1(VALU_DEP_2)
	v_and_b32_e32 v54, 0x7f800000, v2
	v_lshrrev_b32_e32 v3, 24, v2
	v_cmpx_ne_u64_e32 0x7f800000, v[54:55]
	s_xor_b32 s17, exec_lo, s7
	s_cbranch_execz .LBB2_555
; %bb.542:                              ;   in Loop: Header=BB2_417 Depth=2
	v_and_b32_e32 v54, 0x7fffffff, v2
	v_and_b32_e32 v47, 0x80, v3
                                        ; implicit-def: $vgpr41
	s_mov_b32 s7, exec_lo
	s_delay_alu instid0(VALU_DEP_2)
	v_cmpx_gt_u64_e32 0x43e00001, v[54:55]
	s_xor_b32 s18, exec_lo, s7
	s_cbranch_execz .LBB2_552
; %bb.543:                              ;   in Loop: Header=BB2_417 Depth=2
	v_mov_b32_e32 v41, 0
	s_mov_b32 s19, exec_lo
	v_cmpx_ne_u32_e32 0, v2
	s_cbranch_execz .LBB2_551
; %bb.544:                              ;   in Loop: Header=BB2_417 Depth=2
	v_bfe_u32 v41, v2, 23, 8
	v_and_b32_e32 v54, 0x7fffff, v2
	s_delay_alu instid0(VALU_DEP_2) | instskip(NEXT) | instid1(VALU_DEP_2)
	v_cmp_gt_u32_e32 vcc_lo, 0x7a, v41
	v_or_b32_e32 v118, 0x800000, v54
	v_sub_nc_u32_e32 v3, 0x79, v41
	s_delay_alu instid0(VALU_DEP_1) | instskip(SKIP_1) | instid1(VALU_DEP_2)
	v_cndmask_b32_e32 v3, 0, v3, vcc_lo
	v_cmp_eq_u32_e32 vcc_lo, 0, v41
	v_cndmask_b32_e64 v58, v3, 0x78, vcc_lo
	v_cndmask_b32_e32 v54, v118, v54, vcc_lo
	s_delay_alu instid0(VALU_DEP_2) | instskip(NEXT) | instid1(VALU_DEP_1)
	v_dual_add_nc_u32 v2, 20, v58 :: v_dual_add_nc_u32 v119, 19, v58
	v_lshlrev_b64_e64 v[2:3], v2, -1
	s_delay_alu instid0(VALU_DEP_2) | instskip(NEXT) | instid1(VALU_DEP_2)
	v_lshlrev_b64_e64 v[118:119], v119, 1
	v_bfi_b32 v61, v3, 0, 0
	s_delay_alu instid0(VALU_DEP_3) | instskip(SKIP_1) | instid1(VALU_DEP_2)
	v_bfi_b32 v60, v2, 0, v54
	v_lshrrev_b64 v[2:3], v58, v[54:55]
	v_cmp_eq_u64_e64 s7, v[60:61], v[118:119]
	s_delay_alu instid0(VALU_DEP_2)
	v_mov_b64_e32 v[118:119], v[2:3]
	s_and_saveexec_b32 s20, s7
; %bb.545:                              ;   in Loop: Header=BB2_417 Depth=2
	v_bfe_u32 v54, v2, 20, 1
	s_delay_alu instid0(VALU_DEP_1) | instskip(NEXT) | instid1(VALU_DEP_1)
	v_add_nc_u64_e32 v[118:119], v[2:3], v[54:55]
	v_add_nc_u64_e32 v[118:119], -1, v[118:119]
; %bb.546:                              ;   in Loop: Header=BB2_417 Depth=2
	s_or_b32 exec_lo, exec_lo, s20
	v_add_nc_u32_e32 v3, 0xffffff81, v41
	v_lshrrev_b32_e32 v54, 23, v2
	s_mov_b32 s7, exec_lo
	s_delay_alu instid0(VALU_DEP_2) | instskip(NEXT) | instid1(VALU_DEP_1)
	v_cndmask_b32_e64 v3, v3, 0xffffff82, vcc_lo
	v_add3_u32 v119, v58, v3, v54
	v_and_b32_e32 v3, 0xfffff, v118
                                        ; implicit-def: $vgpr118
	s_delay_alu instid0(VALU_DEP_1) | instskip(NEXT) | instid1(VALU_DEP_1)
	v_dual_add_nc_u32 v41, 6, v119 :: v_dual_add_nc_u32 v54, v3, v2
                                        ; implicit-def: $vgpr2_vgpr3
	v_cmpx_ne_u32_e32 0, v41
	s_xor_b32 s7, exec_lo, s7
; %bb.547:                              ;   in Loop: Header=BB2_417 Depth=2
	s_delay_alu instid0(VALU_DEP_2) | instskip(SKIP_1) | instid1(VALU_DEP_1)
	v_cmp_lt_u64_e32 vcc_lo, 0xffffff, v[54:55]
	v_add_nc_u32_e32 v2, 7, v119
	v_cndmask_b32_e32 v118, v41, v2, vcc_lo
	v_cndmask_b32_e64 v2, 0, 1, vcc_lo
	s_delay_alu instid0(VALU_DEP_1)
	v_lshrrev_b64 v[2:3], v2, v[54:55]
; %bb.548:                              ;   in Loop: Header=BB2_417 Depth=2
	s_and_not1_saveexec_b32 s7, s7
; %bb.549:                              ;   in Loop: Header=BB2_417 Depth=2
	v_mov_b64_e32 v[2:3], v[54:55]
	v_bfe_u32 v118, v54, 23, 1
; %bb.550:                              ;   in Loop: Header=BB2_417 Depth=2
	s_or_b32 exec_lo, exec_lo, s7
	s_delay_alu instid0(VALU_DEP_2) | instskip(NEXT) | instid1(VALU_DEP_2)
	v_lshrrev_b64 v[2:3], 20, v[2:3]
	v_cmp_gt_i32_e32 vcc_lo, 16, v118
	v_min_i32_e32 v54, 15, v118
	v_cmp_eq_u32_e64 s7, 0, v118
	s_delay_alu instid0(VALU_DEP_2) | instskip(SKIP_1) | instid1(VALU_DEP_2)
	v_dual_cndmask_b32 v3, 0, v3 :: v_dual_lshlrev_b32 v54, 3, v54
	v_cndmask_b32_e32 v2, 7, v2, vcc_lo
	v_and_b32_e32 v54, 0xf8, v54
	s_delay_alu instid0(VALU_DEP_2) | instskip(NEXT) | instid1(VALU_DEP_2)
	v_cmp_eq_u64_e32 vcc_lo, 0, v[2:3]
	v_and_or_b32 v2, v2, 7, v54
	s_and_b32 s7, s7, vcc_lo
	s_delay_alu instid0(VALU_DEP_1) | instid1(SALU_CYCLE_1)
	v_cndmask_b32_e64 v2, v2, 0, s7
	s_delay_alu instid0(VALU_DEP_1)
	v_or_b32_e32 v41, v2, v47
.LBB2_551:                              ;   in Loop: Header=BB2_417 Depth=2
	s_or_b32 exec_lo, exec_lo, s19
                                        ; implicit-def: $vgpr47
.LBB2_552:                              ;   in Loop: Header=BB2_417 Depth=2
	s_and_not1_saveexec_b32 s7, s18
; %bb.553:                              ;   in Loop: Header=BB2_417 Depth=2
	v_or_b32_e32 v41, 0x7e, v47
; %bb.554:                              ;   in Loop: Header=BB2_417 Depth=2
	s_or_b32 exec_lo, exec_lo, s7
                                        ; implicit-def: $vgpr3
.LBB2_555:                              ;   in Loop: Header=BB2_417 Depth=2
	s_and_not1_saveexec_b32 s7, s17
; %bb.556:                              ;   in Loop: Header=BB2_417 Depth=2
	v_or_b32_e32 v41, 0x7f, v3
; %bb.557:                              ;   in Loop: Header=BB2_417 Depth=2
	s_or_b32 exec_lo, exec_lo, s7
	v_and_b32_e32 v54, 0xff, v4
	v_dual_mov_b32 v2, 0 :: v_dual_mov_b32 v3, 0
	s_mov_b32 s7, exec_lo
	s_delay_alu instid0(VALU_DEP_2)
	v_cmpx_ne_u16_e32 0, v54
	s_cbranch_execz .LBB2_563
; %bb.558:                              ;   in Loop: Header=BB2_417 Depth=2
	v_bfrev_b32_e32 v3, 1
	s_mov_b32 s17, exec_lo
	v_cmpx_ne_u16_e32 0x80, v54
	s_cbranch_execz .LBB2_562
; %bb.559:                              ;   in Loop: Header=BB2_417 Depth=2
	v_and_b32_e32 v54, 0x7f, v4
	v_mov_b32_e32 v3, 0x7f800001
	s_mov_b32 s18, exec_lo
	s_delay_alu instid0(VALU_DEP_2)
	v_cmpx_ne_u32_e32 0x7f, v54
	s_cbranch_execz .LBB2_561
; %bb.560:                              ;   in Loop: Header=BB2_417 Depth=2
	v_dual_lshrrev_b32 v118, 3, v54 :: v_dual_bitop2_b32 v3, 7, v4 bitop3:0x40
	v_cmp_gt_u32_e32 vcc_lo, 8, v54
	s_delay_alu instid0(VALU_DEP_2) | instskip(NEXT) | instid1(VALU_DEP_1)
	v_clz_i32_u32_e32 v3, v3
	v_min_u32_e32 v3, 32, v3
	s_delay_alu instid0(VALU_DEP_1) | instskip(SKIP_1) | instid1(VALU_DEP_2)
	v_subrev_nc_u32_e32 v119, 28, v3
	v_sub_nc_u32_e32 v3, 29, v3
	v_cndmask_b32_e32 v54, 0, v119, vcc_lo
	s_delay_alu instid0(VALU_DEP_2) | instskip(NEXT) | instid1(VALU_DEP_2)
	v_cndmask_b32_e32 v3, v118, v3, vcc_lo
	v_lshlrev_b64_e32 v[118:119], v54, v[4:5]
	v_lshlrev_b32_e32 v5, 24, v4
	s_delay_alu instid0(VALU_DEP_1) | instskip(NEXT) | instid1(VALU_DEP_3)
	v_and_b32_e32 v5, 0x80000000, v5
	v_lshlrev_b32_e32 v54, 20, v118
	v_lshl_add_u32 v3, v3, 23, 0x3c000000
	s_delay_alu instid0(VALU_DEP_2) | instskip(NEXT) | instid1(VALU_DEP_1)
	v_and_b32_e32 v54, 0x700000, v54
	v_or3_b32 v3, v54, v5, v3
.LBB2_561:                              ;   in Loop: Header=BB2_417 Depth=2
	s_or_b32 exec_lo, exec_lo, s18
.LBB2_562:                              ;   in Loop: Header=BB2_417 Depth=2
	s_delay_alu instid0(SALU_CYCLE_1)
	s_or_b32 exec_lo, exec_lo, s17
.LBB2_563:                              ;   in Loop: Header=BB2_417 Depth=2
	s_delay_alu instid0(SALU_CYCLE_1) | instskip(SKIP_2) | instid1(VALU_DEP_1)
	s_or_b32 exec_lo, exec_lo, s7
	v_alignbit_b32 v54, v44, v45, v46
	s_mov_b32 s7, exec_lo
	v_and_b32_e32 v5, 0xff, v54
	s_delay_alu instid0(VALU_DEP_1)
	v_cmpx_ne_u16_e32 0, v5
	s_cbranch_execz .LBB2_569
; %bb.564:                              ;   in Loop: Header=BB2_417 Depth=2
	v_bfrev_b32_e32 v2, 1
	s_mov_b32 s17, exec_lo
	v_cmpx_ne_u16_e32 0x80, v5
	s_cbranch_execz .LBB2_568
; %bb.565:                              ;   in Loop: Header=BB2_417 Depth=2
	v_and_b32_e32 v5, 0x7f, v54
	v_mov_b32_e32 v2, 0x7f800001
	s_mov_b32 s18, exec_lo
	s_delay_alu instid0(VALU_DEP_2)
	v_cmpx_ne_u32_e32 0x7f, v5
	s_cbranch_execz .LBB2_567
; %bb.566:                              ;   in Loop: Header=BB2_417 Depth=2
	v_dual_lshrrev_b32 v118, 3, v5 :: v_dual_bitop2_b32 v2, 7, v54 bitop3:0x40
	v_cmp_gt_u32_e32 vcc_lo, 8, v5
	s_delay_alu instid0(VALU_DEP_2) | instskip(NEXT) | instid1(VALU_DEP_1)
	v_clz_i32_u32_e32 v2, v2
	v_min_u32_e32 v2, 32, v2
	s_delay_alu instid0(VALU_DEP_1) | instskip(NEXT) | instid1(VALU_DEP_1)
	v_subrev_nc_u32_e32 v119, 28, v2
	v_dual_cndmask_b32 v5, 0, v119 :: v_dual_sub_nc_u32 v2, 29, v2
	s_delay_alu instid0(VALU_DEP_1) | instskip(NEXT) | instid1(VALU_DEP_2)
	v_cndmask_b32_e32 v2, v118, v2, vcc_lo
	v_lshlrev_b64_e32 v[118:119], v5, v[54:55]
	v_lshlrev_b32_e32 v5, 24, v54
	s_delay_alu instid0(VALU_DEP_3) | instskip(NEXT) | instid1(VALU_DEP_2)
	v_lshl_add_u32 v2, v2, 23, 0x3c000000
	v_and_b32_e32 v5, 0x80000000, v5
	s_delay_alu instid0(VALU_DEP_4) | instskip(NEXT) | instid1(VALU_DEP_1)
	v_lshlrev_b32_e32 v118, 20, v118
	v_and_b32_e32 v118, 0x700000, v118
	s_delay_alu instid0(VALU_DEP_1)
	v_or3_b32 v2, v118, v5, v2
.LBB2_567:                              ;   in Loop: Header=BB2_417 Depth=2
	s_or_b32 exec_lo, exec_lo, s18
.LBB2_568:                              ;   in Loop: Header=BB2_417 Depth=2
	s_delay_alu instid0(SALU_CYCLE_1)
	s_or_b32 exec_lo, exec_lo, s17
.LBB2_569:                              ;   in Loop: Header=BB2_417 Depth=2
	s_delay_alu instid0(SALU_CYCLE_1) | instskip(NEXT) | instid1(VALU_DEP_1)
	s_or_b32 exec_lo, exec_lo, s7
	v_add_f32_e32 v2, v3, v2
	v_mov_b32_e32 v119, v55
                                        ; implicit-def: $vgpr44
	s_mov_b32 s7, exec_lo
	s_delay_alu instid0(VALU_DEP_2) | instskip(SKIP_1) | instid1(VALU_DEP_2)
	v_and_b32_e32 v118, 0x7f800000, v2
	v_lshrrev_b32_e32 v3, 24, v2
	v_cmpx_ne_u64_e32 0x7f800000, v[118:119]
	s_xor_b32 s17, exec_lo, s7
	s_cbranch_execz .LBB2_583
; %bb.570:                              ;   in Loop: Header=BB2_417 Depth=2
	v_and_b32_e32 v118, 0x7fffffff, v2
	v_mov_b32_e32 v119, v55
	v_and_b32_e32 v5, 0x80, v3
                                        ; implicit-def: $vgpr44
	s_mov_b32 s7, exec_lo
	s_delay_alu instid0(VALU_DEP_2)
	v_cmpx_gt_u64_e32 0x43e00001, v[118:119]
	s_xor_b32 s18, exec_lo, s7
	s_cbranch_execz .LBB2_580
; %bb.571:                              ;   in Loop: Header=BB2_417 Depth=2
	v_mov_b32_e32 v44, 0
	s_mov_b32 s19, exec_lo
	v_cmpx_ne_u32_e32 0, v2
	s_cbranch_execz .LBB2_579
; %bb.572:                              ;   in Loop: Header=BB2_417 Depth=2
	v_bfe_u32 v44, v2, 23, 8
	v_and_b32_e32 v118, 0x7fffff, v2
	s_mov_b32 s20, exec_lo
	s_delay_alu instid0(VALU_DEP_2) | instskip(NEXT) | instid1(VALU_DEP_2)
	v_cmp_gt_u32_e32 vcc_lo, 0x7a, v44
	v_or_b32_e32 v119, 0x800000, v118
	v_sub_nc_u32_e32 v3, 0x79, v44
	s_delay_alu instid0(VALU_DEP_1) | instskip(SKIP_1) | instid1(VALU_DEP_2)
	v_cndmask_b32_e32 v3, 0, v3, vcc_lo
	v_cmp_eq_u32_e32 vcc_lo, 0, v44
	v_cndmask_b32_e64 v45, v3, 0x78, vcc_lo
	v_cndmask_b32_e32 v118, v119, v118, vcc_lo
	s_delay_alu instid0(VALU_DEP_2) | instskip(SKIP_1) | instid1(VALU_DEP_2)
	v_dual_mov_b32 v119, v55 :: v_dual_add_nc_u32 v46, 19, v45
	v_add_nc_u32_e32 v2, 20, v45
	v_lshlrev_b64_e64 v[46:47], v46, 1
	s_delay_alu instid0(VALU_DEP_2) | instskip(NEXT) | instid1(VALU_DEP_1)
	v_lshlrev_b64_e64 v[2:3], v2, -1
	v_bfi_b32 v59, v3, 0, 0
	s_delay_alu instid0(VALU_DEP_2) | instskip(SKIP_1) | instid1(VALU_DEP_1)
	v_bfi_b32 v58, v2, 0, v118
	v_lshrrev_b64 v[2:3], v45, v[118:119]
	v_mov_b64_e32 v[118:119], v[2:3]
	s_delay_alu instid0(VALU_DEP_3)
	v_cmpx_eq_u64_e64 v[58:59], v[46:47]
; %bb.573:                              ;   in Loop: Header=BB2_417 Depth=2
	v_bfe_u32 v118, v2, 20, 1
	v_mov_b32_e32 v119, v55
	s_delay_alu instid0(VALU_DEP_1) | instskip(NEXT) | instid1(VALU_DEP_1)
	v_add_nc_u64_e32 v[118:119], v[2:3], v[118:119]
	v_add_nc_u64_e32 v[118:119], -1, v[118:119]
; %bb.574:                              ;   in Loop: Header=BB2_417 Depth=2
	s_or_b32 exec_lo, exec_lo, s20
	v_add_nc_u32_e32 v3, 0xffffff81, v44
	v_lshrrev_b32_e32 v119, 23, v2
	s_mov_b32 s7, exec_lo
	s_delay_alu instid0(VALU_DEP_2) | instskip(NEXT) | instid1(VALU_DEP_1)
	v_cndmask_b32_e64 v3, v3, 0xffffff82, vcc_lo
	v_add3_u32 v119, v45, v3, v119
	v_and_b32_e32 v3, 0xfffff, v118
                                        ; implicit-def: $vgpr118
	s_delay_alu instid0(VALU_DEP_1) | instskip(SKIP_1) | instid1(VALU_DEP_2)
	v_dual_add_nc_u32 v44, 6, v119 :: v_dual_add_nc_u32 v2, v3, v2
	v_mov_b32_e32 v3, v55
	v_cmpx_ne_u32_e32 0, v44
	s_xor_b32 s7, exec_lo, s7
; %bb.575:                              ;   in Loop: Header=BB2_417 Depth=2
	s_delay_alu instid0(VALU_DEP_2) | instskip(SKIP_2) | instid1(VALU_DEP_2)
	v_cmp_lt_u64_e32 vcc_lo, 0xffffff, v[2:3]
	v_add_nc_u32_e32 v118, 7, v119
	v_cndmask_b32_e64 v119, 0, 1, vcc_lo
	v_cndmask_b32_e32 v118, v44, v118, vcc_lo
	s_delay_alu instid0(VALU_DEP_2)
	v_lshrrev_b64 v[2:3], v119, v[2:3]
; %bb.576:                              ;   in Loop: Header=BB2_417 Depth=2
	s_and_not1_saveexec_b32 s7, s7
; %bb.577:                              ;   in Loop: Header=BB2_417 Depth=2
	s_delay_alu instid0(VALU_DEP_1)
	v_bfe_u32 v118, v2, 23, 1
; %bb.578:                              ;   in Loop: Header=BB2_417 Depth=2
	s_or_b32 exec_lo, exec_lo, s7
	s_delay_alu instid0(VALU_DEP_2) | instskip(NEXT) | instid1(VALU_DEP_2)
	v_lshrrev_b64 v[2:3], 20, v[2:3]
	v_cmp_gt_i32_e32 vcc_lo, 16, v118
	v_min_i32_e32 v119, 15, v118
	v_cmp_eq_u32_e64 s7, 0, v118
	s_delay_alu instid0(VALU_DEP_4) | instskip(NEXT) | instid1(VALU_DEP_3)
	v_cndmask_b32_e32 v3, 0, v3, vcc_lo
	v_dual_cndmask_b32 v2, 7, v2 :: v_dual_lshlrev_b32 v119, 3, v119
	s_delay_alu instid0(VALU_DEP_1) | instskip(NEXT) | instid1(VALU_DEP_2)
	v_and_b32_e32 v119, 0xf8, v119
	v_cmp_eq_u64_e32 vcc_lo, 0, v[2:3]
	s_delay_alu instid0(VALU_DEP_2)
	v_and_or_b32 v2, v2, 7, v119
	s_and_b32 s7, s7, vcc_lo
	s_delay_alu instid0(VALU_DEP_1) | instid1(SALU_CYCLE_1)
	v_cndmask_b32_e64 v2, v2, 0, s7
	s_delay_alu instid0(VALU_DEP_1)
	v_or_b32_e32 v44, v2, v5
.LBB2_579:                              ;   in Loop: Header=BB2_417 Depth=2
	s_or_b32 exec_lo, exec_lo, s19
                                        ; implicit-def: $vgpr5
.LBB2_580:                              ;   in Loop: Header=BB2_417 Depth=2
	s_and_not1_saveexec_b32 s7, s18
; %bb.581:                              ;   in Loop: Header=BB2_417 Depth=2
	v_or_b32_e32 v44, 0x7e, v5
; %bb.582:                              ;   in Loop: Header=BB2_417 Depth=2
	s_or_b32 exec_lo, exec_lo, s7
                                        ; implicit-def: $vgpr3
.LBB2_583:                              ;   in Loop: Header=BB2_417 Depth=2
	s_and_not1_saveexec_b32 s7, s17
; %bb.584:                              ;   in Loop: Header=BB2_417 Depth=2
	v_or_b32_e32 v44, 0x7f, v3
; %bb.585:                              ;   in Loop: Header=BB2_417 Depth=2
	s_or_b32 exec_lo, exec_lo, s7
	v_lshrrev_b16 v2, 8, v4
	v_dual_mov_b32 v5, 0 :: v_dual_mov_b32 v118, 0
	s_mov_b32 s7, exec_lo
	s_delay_alu instid0(VALU_DEP_2)
	v_cmpx_ne_u16_e32 0, v2
	s_cbranch_execz .LBB2_593
; %bb.586:                              ;   in Loop: Header=BB2_417 Depth=2
	v_bfrev_b32_e32 v118, 1
	s_mov_b32 s17, exec_lo
	v_cmpx_ne_u16_e32 0x80, v2
	s_cbranch_execz .LBB2_592
; %bb.587:                              ;   in Loop: Header=BB2_417 Depth=2
	v_and_b32_e32 v2, 0xffff, v2
	v_mov_b32_e32 v118, 0x7f800001
	s_mov_b32 s18, exec_lo
	s_delay_alu instid0(VALU_DEP_2) | instskip(NEXT) | instid1(VALU_DEP_1)
	v_and_b32_e32 v119, 0x7f, v2
	v_cmpx_ne_u32_e32 0x7f, v119
	s_cbranch_execz .LBB2_591
; %bb.588:                              ;   in Loop: Header=BB2_417 Depth=2
	v_dual_mov_b32 v3, v55 :: v_dual_bitop2_b32 v2, 7, v2 bitop3:0x40
	v_lshrrev_b32_e32 v118, 3, v119
	s_mov_b32 s19, exec_lo
	v_cmpx_gt_u32_e32 8, v119
; %bb.589:                              ;   in Loop: Header=BB2_417 Depth=2
	s_delay_alu instid0(VALU_DEP_3) | instskip(NEXT) | instid1(VALU_DEP_1)
	v_clz_i32_u32_e32 v118, v2
	v_min_u32_e32 v118, 32, v118
	s_delay_alu instid0(VALU_DEP_1) | instskip(SKIP_1) | instid1(VALU_DEP_2)
	v_subrev_nc_u32_e32 v119, 28, v118
	v_sub_nc_u32_e32 v118, 29, v118
	v_lshlrev_b64_e32 v[2:3], v119, v[2:3]
	s_delay_alu instid0(VALU_DEP_1)
	v_and_b32_e32 v2, 7, v2
; %bb.590:                              ;   in Loop: Header=BB2_417 Depth=2
	s_or_b32 exec_lo, exec_lo, s19
	s_delay_alu instid0(VALU_DEP_1) | instskip(SKIP_1) | instid1(VALU_DEP_2)
	v_dual_lshlrev_b32 v3, 16, v4 :: v_dual_lshlrev_b32 v2, 20, v2
	v_lshl_add_u32 v118, v118, 23, 0x3c000000
	v_and_b32_e32 v3, 0x80000000, v3
	s_delay_alu instid0(VALU_DEP_1)
	v_or3_b32 v118, v2, v3, v118
.LBB2_591:                              ;   in Loop: Header=BB2_417 Depth=2
	s_or_b32 exec_lo, exec_lo, s18
.LBB2_592:                              ;   in Loop: Header=BB2_417 Depth=2
	s_delay_alu instid0(SALU_CYCLE_1)
	s_or_b32 exec_lo, exec_lo, s17
.LBB2_593:                              ;   in Loop: Header=BB2_417 Depth=2
	s_delay_alu instid0(SALU_CYCLE_1) | instskip(SKIP_2) | instid1(VALU_DEP_1)
	s_or_b32 exec_lo, exec_lo, s7
	v_lshrrev_b16 v2, 8, v54
	s_mov_b32 s7, exec_lo
	v_cmpx_ne_u16_e32 0, v2
	s_cbranch_execz .LBB2_601
; %bb.594:                              ;   in Loop: Header=BB2_417 Depth=2
	v_bfrev_b32_e32 v5, 1
	s_mov_b32 s17, exec_lo
	v_cmpx_ne_u16_e32 0x80, v2
	s_cbranch_execz .LBB2_600
; %bb.595:                              ;   in Loop: Header=BB2_417 Depth=2
	v_and_b32_e32 v2, 0xffff, v2
	v_mov_b32_e32 v5, 0x7f800001
	s_mov_b32 s18, exec_lo
	s_delay_alu instid0(VALU_DEP_2) | instskip(NEXT) | instid1(VALU_DEP_1)
	v_and_b32_e32 v119, 0x7f, v2
	v_cmpx_ne_u32_e32 0x7f, v119
	s_cbranch_execz .LBB2_599
; %bb.596:                              ;   in Loop: Header=BB2_417 Depth=2
	v_dual_mov_b32 v3, v55 :: v_dual_bitop2_b32 v2, 7, v2 bitop3:0x40
	v_lshrrev_b32_e32 v5, 3, v119
	s_mov_b32 s19, exec_lo
	v_cmpx_gt_u32_e32 8, v119
; %bb.597:                              ;   in Loop: Header=BB2_417 Depth=2
	s_delay_alu instid0(VALU_DEP_3) | instskip(NEXT) | instid1(VALU_DEP_1)
	v_clz_i32_u32_e32 v5, v2
	v_min_u32_e32 v5, 32, v5
	s_delay_alu instid0(VALU_DEP_1) | instskip(NEXT) | instid1(VALU_DEP_1)
	v_subrev_nc_u32_e32 v119, 28, v5
	v_lshlrev_b64_e32 v[2:3], v119, v[2:3]
	s_delay_alu instid0(VALU_DEP_1)
	v_dual_sub_nc_u32 v5, 29, v5 :: v_dual_bitop2_b32 v2, 7, v2 bitop3:0x40
; %bb.598:                              ;   in Loop: Header=BB2_417 Depth=2
	s_or_b32 exec_lo, exec_lo, s19
	v_lshlrev_b32_e32 v3, 16, v54
	s_delay_alu instid0(VALU_DEP_2) | instskip(NEXT) | instid1(VALU_DEP_3)
	v_lshlrev_b32_e32 v2, 20, v2
	v_lshl_add_u32 v5, v5, 23, 0x3c000000
	s_delay_alu instid0(VALU_DEP_3) | instskip(NEXT) | instid1(VALU_DEP_1)
	v_and_b32_e32 v3, 0x80000000, v3
	v_or3_b32 v5, v2, v3, v5
.LBB2_599:                              ;   in Loop: Header=BB2_417 Depth=2
	s_or_b32 exec_lo, exec_lo, s18
.LBB2_600:                              ;   in Loop: Header=BB2_417 Depth=2
	s_delay_alu instid0(SALU_CYCLE_1)
	s_or_b32 exec_lo, exec_lo, s17
.LBB2_601:                              ;   in Loop: Header=BB2_417 Depth=2
	s_delay_alu instid0(SALU_CYCLE_1) | instskip(NEXT) | instid1(VALU_DEP_1)
	s_or_b32 exec_lo, exec_lo, s7
	v_dual_add_f32 v2, v118, v5 :: v_dual_mov_b32 v119, v55
                                        ; implicit-def: $vgpr45
	s_mov_b32 s7, exec_lo
	s_delay_alu instid0(VALU_DEP_1) | instskip(SKIP_1) | instid1(VALU_DEP_2)
	v_and_b32_e32 v118, 0x7f800000, v2
	v_lshrrev_b32_e32 v3, 24, v2
	v_cmpx_ne_u64_e32 0x7f800000, v[118:119]
	s_xor_b32 s17, exec_lo, s7
	s_cbranch_execz .LBB2_615
; %bb.602:                              ;   in Loop: Header=BB2_417 Depth=2
	v_and_b32_e32 v118, 0x7fffffff, v2
	v_mov_b32_e32 v119, v55
	v_and_b32_e32 v5, 0x80, v3
                                        ; implicit-def: $vgpr45
	s_mov_b32 s7, exec_lo
	s_delay_alu instid0(VALU_DEP_2)
	v_cmpx_gt_u64_e32 0x43e00001, v[118:119]
	s_xor_b32 s18, exec_lo, s7
	s_cbranch_execz .LBB2_612
; %bb.603:                              ;   in Loop: Header=BB2_417 Depth=2
	v_mov_b32_e32 v45, 0
	s_mov_b32 s19, exec_lo
	v_cmpx_ne_u32_e32 0, v2
	s_cbranch_execz .LBB2_611
; %bb.604:                              ;   in Loop: Header=BB2_417 Depth=2
	v_bfe_u32 v45, v2, 23, 8
	v_and_b32_e32 v118, 0x7fffff, v2
	s_mov_b32 s20, exec_lo
	s_delay_alu instid0(VALU_DEP_2) | instskip(NEXT) | instid1(VALU_DEP_2)
	v_cmp_gt_u32_e32 vcc_lo, 0x7a, v45
	v_or_b32_e32 v119, 0x800000, v118
	v_sub_nc_u32_e32 v3, 0x79, v45
	s_delay_alu instid0(VALU_DEP_1) | instskip(SKIP_1) | instid1(VALU_DEP_2)
	v_cndmask_b32_e32 v3, 0, v3, vcc_lo
	v_cmp_eq_u32_e32 vcc_lo, 0, v45
	v_cndmask_b32_e64 v46, v3, 0x78, vcc_lo
	v_cndmask_b32_e32 v118, v119, v118, vcc_lo
	s_delay_alu instid0(VALU_DEP_2) | instskip(SKIP_1) | instid1(VALU_DEP_2)
	v_dual_mov_b32 v119, v55 :: v_dual_add_nc_u32 v47, 19, v46
	v_add_nc_u32_e32 v2, 20, v46
	v_lshlrev_b64_e64 v[58:59], v47, 1
	s_delay_alu instid0(VALU_DEP_2) | instskip(NEXT) | instid1(VALU_DEP_1)
	v_lshlrev_b64_e64 v[2:3], v2, -1
	v_bfi_b32 v61, v3, 0, 0
	s_delay_alu instid0(VALU_DEP_2) | instskip(SKIP_1) | instid1(VALU_DEP_1)
	v_bfi_b32 v60, v2, 0, v118
	v_lshrrev_b64 v[2:3], v46, v[118:119]
	v_mov_b64_e32 v[118:119], v[2:3]
	s_delay_alu instid0(VALU_DEP_3)
	v_cmpx_eq_u64_e64 v[60:61], v[58:59]
; %bb.605:                              ;   in Loop: Header=BB2_417 Depth=2
	v_bfe_u32 v118, v2, 20, 1
	v_mov_b32_e32 v119, v55
	s_delay_alu instid0(VALU_DEP_1) | instskip(NEXT) | instid1(VALU_DEP_1)
	v_add_nc_u64_e32 v[118:119], v[2:3], v[118:119]
	v_add_nc_u64_e32 v[118:119], -1, v[118:119]
; %bb.606:                              ;   in Loop: Header=BB2_417 Depth=2
	s_or_b32 exec_lo, exec_lo, s20
	v_add_nc_u32_e32 v3, 0xffffff81, v45
	v_lshrrev_b32_e32 v119, 23, v2
	s_mov_b32 s7, exec_lo
	s_delay_alu instid0(VALU_DEP_2) | instskip(NEXT) | instid1(VALU_DEP_1)
	v_cndmask_b32_e64 v3, v3, 0xffffff82, vcc_lo
	v_add3_u32 v119, v46, v3, v119
	v_and_b32_e32 v3, 0xfffff, v118
                                        ; implicit-def: $vgpr118
	s_delay_alu instid0(VALU_DEP_1) | instskip(SKIP_1) | instid1(VALU_DEP_2)
	v_dual_add_nc_u32 v45, 6, v119 :: v_dual_add_nc_u32 v2, v3, v2
	v_mov_b32_e32 v3, v55
	v_cmpx_ne_u32_e32 0, v45
	s_xor_b32 s7, exec_lo, s7
; %bb.607:                              ;   in Loop: Header=BB2_417 Depth=2
	s_delay_alu instid0(VALU_DEP_2) | instskip(SKIP_2) | instid1(VALU_DEP_2)
	v_cmp_lt_u64_e32 vcc_lo, 0xffffff, v[2:3]
	v_add_nc_u32_e32 v118, 7, v119
	v_cndmask_b32_e64 v119, 0, 1, vcc_lo
	v_cndmask_b32_e32 v118, v45, v118, vcc_lo
	s_delay_alu instid0(VALU_DEP_2)
	v_lshrrev_b64 v[2:3], v119, v[2:3]
; %bb.608:                              ;   in Loop: Header=BB2_417 Depth=2
	s_and_not1_saveexec_b32 s7, s7
; %bb.609:                              ;   in Loop: Header=BB2_417 Depth=2
	s_delay_alu instid0(VALU_DEP_1)
	v_bfe_u32 v118, v2, 23, 1
; %bb.610:                              ;   in Loop: Header=BB2_417 Depth=2
	s_or_b32 exec_lo, exec_lo, s7
	s_delay_alu instid0(VALU_DEP_2) | instskip(NEXT) | instid1(VALU_DEP_2)
	v_lshrrev_b64 v[2:3], 20, v[2:3]
	v_cmp_gt_i32_e32 vcc_lo, 16, v118
	v_min_i32_e32 v119, 15, v118
	v_cmp_eq_u32_e64 s7, 0, v118
	s_delay_alu instid0(VALU_DEP_4) | instskip(NEXT) | instid1(VALU_DEP_3)
	v_cndmask_b32_e32 v3, 0, v3, vcc_lo
	v_dual_cndmask_b32 v2, 7, v2 :: v_dual_lshlrev_b32 v119, 3, v119
	s_delay_alu instid0(VALU_DEP_1) | instskip(NEXT) | instid1(VALU_DEP_2)
	v_and_b32_e32 v119, 0xf8, v119
	v_cmp_eq_u64_e32 vcc_lo, 0, v[2:3]
	s_delay_alu instid0(VALU_DEP_2)
	v_and_or_b32 v2, v2, 7, v119
	s_and_b32 s7, s7, vcc_lo
	s_delay_alu instid0(VALU_DEP_1) | instid1(SALU_CYCLE_1)
	v_cndmask_b32_e64 v2, v2, 0, s7
	s_delay_alu instid0(VALU_DEP_1)
	v_or_b32_e32 v45, v2, v5
.LBB2_611:                              ;   in Loop: Header=BB2_417 Depth=2
	s_or_b32 exec_lo, exec_lo, s19
                                        ; implicit-def: $vgpr5
.LBB2_612:                              ;   in Loop: Header=BB2_417 Depth=2
	s_and_not1_saveexec_b32 s7, s18
; %bb.613:                              ;   in Loop: Header=BB2_417 Depth=2
	v_or_b32_e32 v45, 0x7e, v5
; %bb.614:                              ;   in Loop: Header=BB2_417 Depth=2
	s_or_b32 exec_lo, exec_lo, s7
                                        ; implicit-def: $vgpr3
.LBB2_615:                              ;   in Loop: Header=BB2_417 Depth=2
	s_and_not1_saveexec_b32 s7, s17
; %bb.616:                              ;   in Loop: Header=BB2_417 Depth=2
	v_or_b32_e32 v45, 0x7f, v3
; %bb.617:                              ;   in Loop: Header=BB2_417 Depth=2
	s_or_b32 exec_lo, exec_lo, s7
	v_dual_lshrrev_b32 v119, 16, v4 :: v_dual_mov_b32 v5, 0
	v_mov_b32_e32 v118, 0
	s_mov_b32 s7, exec_lo
	s_delay_alu instid0(VALU_DEP_2) | instskip(NEXT) | instid1(VALU_DEP_1)
	v_and_b32_e32 v2, 0xff, v119
	v_cmpx_ne_u16_e32 0, v2
	s_cbranch_execz .LBB2_625
; %bb.618:                              ;   in Loop: Header=BB2_417 Depth=2
	v_bfrev_b32_e32 v118, 1
	s_mov_b32 s17, exec_lo
	v_cmpx_ne_u16_e32 0x80, v2
	s_cbranch_execz .LBB2_624
; %bb.619:                              ;   in Loop: Header=BB2_417 Depth=2
	v_bfe_u32 v46, v4, 16, 7
	v_mov_b32_e32 v118, 0x7f800001
	s_mov_b32 s18, exec_lo
	s_delay_alu instid0(VALU_DEP_2)
	v_cmpx_ne_u32_e32 0x7f, v46
	s_cbranch_execz .LBB2_623
; %bb.620:                              ;   in Loop: Header=BB2_417 Depth=2
	v_dual_mov_b32 v3, v55 :: v_dual_bitop2_b32 v2, 7, v119 bitop3:0x40
	v_lshrrev_b32_e32 v118, 3, v46
	s_mov_b32 s19, exec_lo
	v_cmpx_gt_u32_e32 8, v46
; %bb.621:                              ;   in Loop: Header=BB2_417 Depth=2
	s_delay_alu instid0(VALU_DEP_3) | instskip(NEXT) | instid1(VALU_DEP_1)
	v_clz_i32_u32_e32 v118, v2
	v_min_u32_e32 v118, 32, v118
	s_delay_alu instid0(VALU_DEP_1) | instskip(SKIP_1) | instid1(VALU_DEP_2)
	v_subrev_nc_u32_e32 v46, 28, v118
	v_sub_nc_u32_e32 v118, 29, v118
	v_lshlrev_b64_e32 v[2:3], v46, v[2:3]
	s_delay_alu instid0(VALU_DEP_1)
	v_and_b32_e32 v2, 7, v2
; %bb.622:                              ;   in Loop: Header=BB2_417 Depth=2
	s_or_b32 exec_lo, exec_lo, s19
	s_delay_alu instid0(VALU_DEP_1) | instskip(SKIP_1) | instid1(VALU_DEP_2)
	v_dual_lshlrev_b32 v3, 24, v119 :: v_dual_lshlrev_b32 v2, 20, v2
	v_lshl_add_u32 v118, v118, 23, 0x3c000000
	v_and_b32_e32 v3, 0x80000000, v3
	s_delay_alu instid0(VALU_DEP_1)
	v_or3_b32 v118, v2, v3, v118
.LBB2_623:                              ;   in Loop: Header=BB2_417 Depth=2
	s_or_b32 exec_lo, exec_lo, s18
.LBB2_624:                              ;   in Loop: Header=BB2_417 Depth=2
	s_delay_alu instid0(SALU_CYCLE_1)
	s_or_b32 exec_lo, exec_lo, s17
.LBB2_625:                              ;   in Loop: Header=BB2_417 Depth=2
	s_delay_alu instid0(SALU_CYCLE_1) | instskip(SKIP_2) | instid1(VALU_DEP_1)
	s_or_b32 exec_lo, exec_lo, s7
	v_lshrrev_b32_e32 v2, 16, v54
	s_mov_b32 s7, exec_lo
	v_and_b32_e32 v3, 0xff, v2
	s_delay_alu instid0(VALU_DEP_1)
	v_cmpx_ne_u16_e32 0, v3
	s_cbranch_execz .LBB2_633
; %bb.626:                              ;   in Loop: Header=BB2_417 Depth=2
	v_bfrev_b32_e32 v5, 1
	s_mov_b32 s17, exec_lo
	v_cmpx_ne_u16_e32 0x80, v3
	s_cbranch_execz .LBB2_632
; %bb.627:                              ;   in Loop: Header=BB2_417 Depth=2
	v_bfe_u32 v119, v54, 16, 7
	v_mov_b32_e32 v5, 0x7f800001
	s_mov_b32 s18, exec_lo
	s_delay_alu instid0(VALU_DEP_2)
	v_cmpx_ne_u32_e32 0x7f, v119
	s_cbranch_execz .LBB2_631
; %bb.628:                              ;   in Loop: Header=BB2_417 Depth=2
	v_dual_mov_b32 v3, v55 :: v_dual_bitop2_b32 v2, 7, v2 bitop3:0x40
	v_lshrrev_b32_e32 v5, 3, v119
	s_mov_b32 s19, exec_lo
	v_cmpx_gt_u32_e32 8, v119
; %bb.629:                              ;   in Loop: Header=BB2_417 Depth=2
	s_delay_alu instid0(VALU_DEP_3) | instskip(NEXT) | instid1(VALU_DEP_1)
	v_clz_i32_u32_e32 v5, v2
	v_min_u32_e32 v5, 32, v5
	s_delay_alu instid0(VALU_DEP_1) | instskip(NEXT) | instid1(VALU_DEP_1)
	v_subrev_nc_u32_e32 v119, 28, v5
	v_lshlrev_b64_e32 v[2:3], v119, v[2:3]
	s_delay_alu instid0(VALU_DEP_1)
	v_dual_sub_nc_u32 v5, 29, v5 :: v_dual_bitop2_b32 v2, 7, v2 bitop3:0x40
; %bb.630:                              ;   in Loop: Header=BB2_417 Depth=2
	s_or_b32 exec_lo, exec_lo, s19
	v_lshlrev_b32_e32 v3, 8, v54
	s_delay_alu instid0(VALU_DEP_2) | instskip(NEXT) | instid1(VALU_DEP_3)
	v_lshlrev_b32_e32 v2, 20, v2
	v_lshl_add_u32 v5, v5, 23, 0x3c000000
	s_delay_alu instid0(VALU_DEP_3) | instskip(NEXT) | instid1(VALU_DEP_1)
	v_and_b32_e32 v3, 0x80000000, v3
	v_or3_b32 v5, v2, v3, v5
.LBB2_631:                              ;   in Loop: Header=BB2_417 Depth=2
	s_or_b32 exec_lo, exec_lo, s18
.LBB2_632:                              ;   in Loop: Header=BB2_417 Depth=2
	s_delay_alu instid0(SALU_CYCLE_1)
	s_or_b32 exec_lo, exec_lo, s17
.LBB2_633:                              ;   in Loop: Header=BB2_417 Depth=2
	s_delay_alu instid0(SALU_CYCLE_1) | instskip(NEXT) | instid1(VALU_DEP_1)
	s_or_b32 exec_lo, exec_lo, s7
	v_dual_add_f32 v2, v118, v5 :: v_dual_mov_b32 v119, v55
	s_delay_alu instid0(VALU_DEP_1) | instskip(SKIP_1) | instid1(VALU_DEP_2)
	v_and_b32_e32 v118, 0x7f800000, v2
	v_lshrrev_b32_e32 v3, 24, v2
	v_cmp_ne_u64_e32 vcc_lo, 0x7f800000, v[118:119]
                                        ; implicit-def: $vgpr118
	s_and_saveexec_b32 s7, vcc_lo
	s_delay_alu instid0(SALU_CYCLE_1)
	s_xor_b32 s17, exec_lo, s7
	s_cbranch_execz .LBB2_647
; %bb.634:                              ;   in Loop: Header=BB2_417 Depth=2
	v_and_b32_e32 v118, 0x7fffffff, v2
	v_mov_b32_e32 v119, v55
	v_and_b32_e32 v5, 0x80, v3
	s_delay_alu instid0(VALU_DEP_2) | instskip(SKIP_1) | instid1(SALU_CYCLE_1)
	v_cmp_gt_u64_e32 vcc_lo, 0x43e00001, v[118:119]
                                        ; implicit-def: $vgpr118
	s_and_saveexec_b32 s7, vcc_lo
	s_xor_b32 s18, exec_lo, s7
	s_cbranch_execz .LBB2_644
; %bb.635:                              ;   in Loop: Header=BB2_417 Depth=2
	v_mov_b32_e32 v118, 0
	s_mov_b32 s19, exec_lo
	v_cmpx_ne_u32_e32 0, v2
	s_cbranch_execz .LBB2_643
; %bb.636:                              ;   in Loop: Header=BB2_417 Depth=2
	v_bfe_u32 v46, v2, 23, 8
	v_and_b32_e32 v118, 0x7fffff, v2
	s_mov_b32 s20, exec_lo
	s_delay_alu instid0(VALU_DEP_2) | instskip(SKIP_1) | instid1(VALU_DEP_3)
	v_sub_nc_u32_e32 v3, 0x79, v46
	v_cmp_gt_u32_e32 vcc_lo, 0x7a, v46
	v_or_b32_e32 v119, 0x800000, v118
	s_delay_alu instid0(VALU_DEP_3) | instskip(SKIP_1) | instid1(VALU_DEP_3)
	v_cndmask_b32_e32 v3, 0, v3, vcc_lo
	v_cmp_eq_u32_e32 vcc_lo, 0, v46
	v_cndmask_b32_e32 v118, v119, v118, vcc_lo
	s_delay_alu instid0(VALU_DEP_3) | instskip(NEXT) | instid1(VALU_DEP_1)
	v_cndmask_b32_e64 v47, v3, 0x78, vcc_lo
	v_dual_mov_b32 v119, v55 :: v_dual_add_nc_u32 v2, 20, v47
	v_add_nc_u32_e32 v58, 19, v47
	s_delay_alu instid0(VALU_DEP_2) | instskip(NEXT) | instid1(VALU_DEP_2)
	v_lshlrev_b64_e64 v[2:3], v2, -1
	v_lshlrev_b64_e64 v[58:59], v58, 1
	s_delay_alu instid0(VALU_DEP_2) | instskip(NEXT) | instid1(VALU_DEP_3)
	v_bfi_b32 v61, v3, 0, 0
	v_bfi_b32 v60, v2, 0, v118
	v_lshrrev_b64 v[2:3], v47, v[118:119]
	s_delay_alu instid0(VALU_DEP_1) | instskip(NEXT) | instid1(VALU_DEP_3)
	v_mov_b64_e32 v[118:119], v[2:3]
	v_cmpx_eq_u64_e64 v[60:61], v[58:59]
; %bb.637:                              ;   in Loop: Header=BB2_417 Depth=2
	v_bfe_u32 v118, v2, 20, 1
	v_mov_b32_e32 v119, v55
	s_delay_alu instid0(VALU_DEP_1) | instskip(NEXT) | instid1(VALU_DEP_1)
	v_add_nc_u64_e32 v[118:119], v[2:3], v[118:119]
	v_add_nc_u64_e32 v[118:119], -1, v[118:119]
; %bb.638:                              ;   in Loop: Header=BB2_417 Depth=2
	s_or_b32 exec_lo, exec_lo, s20
	v_add_nc_u32_e32 v3, 0xffffff81, v46
	v_lshrrev_b32_e32 v119, 23, v2
	s_mov_b32 s7, exec_lo
	s_delay_alu instid0(VALU_DEP_2) | instskip(NEXT) | instid1(VALU_DEP_1)
	v_cndmask_b32_e64 v3, v3, 0xffffff82, vcc_lo
	v_add3_u32 v119, v47, v3, v119
	v_and_b32_e32 v3, 0xfffff, v118
                                        ; implicit-def: $vgpr118
	s_delay_alu instid0(VALU_DEP_1) | instskip(SKIP_1) | instid1(VALU_DEP_2)
	v_dual_add_nc_u32 v46, 6, v119 :: v_dual_add_nc_u32 v2, v3, v2
	v_mov_b32_e32 v3, v55
	v_cmpx_ne_u32_e32 0, v46
	s_xor_b32 s7, exec_lo, s7
; %bb.639:                              ;   in Loop: Header=BB2_417 Depth=2
	s_delay_alu instid0(VALU_DEP_2) | instskip(SKIP_2) | instid1(VALU_DEP_2)
	v_cmp_lt_u64_e32 vcc_lo, 0xffffff, v[2:3]
	v_add_nc_u32_e32 v118, 7, v119
	v_cndmask_b32_e64 v119, 0, 1, vcc_lo
	v_cndmask_b32_e32 v118, v46, v118, vcc_lo
	s_delay_alu instid0(VALU_DEP_2)
	v_lshrrev_b64 v[2:3], v119, v[2:3]
; %bb.640:                              ;   in Loop: Header=BB2_417 Depth=2
	s_and_not1_saveexec_b32 s7, s7
; %bb.641:                              ;   in Loop: Header=BB2_417 Depth=2
	s_delay_alu instid0(VALU_DEP_1)
	v_bfe_u32 v118, v2, 23, 1
; %bb.642:                              ;   in Loop: Header=BB2_417 Depth=2
	s_or_b32 exec_lo, exec_lo, s7
	s_delay_alu instid0(VALU_DEP_2) | instskip(NEXT) | instid1(VALU_DEP_2)
	v_lshrrev_b64 v[2:3], 20, v[2:3]
	v_cmp_gt_i32_e32 vcc_lo, 16, v118
	v_min_i32_e32 v119, 15, v118
	v_cmp_eq_u32_e64 s7, 0, v118
	s_delay_alu instid0(VALU_DEP_4) | instskip(NEXT) | instid1(VALU_DEP_3)
	v_cndmask_b32_e32 v3, 0, v3, vcc_lo
	v_dual_cndmask_b32 v2, 7, v2 :: v_dual_lshlrev_b32 v119, 3, v119
	s_delay_alu instid0(VALU_DEP_1) | instskip(NEXT) | instid1(VALU_DEP_2)
	v_and_b32_e32 v119, 0xf8, v119
	v_cmp_eq_u64_e32 vcc_lo, 0, v[2:3]
	s_delay_alu instid0(VALU_DEP_2)
	v_and_or_b32 v2, v2, 7, v119
	s_and_b32 s7, s7, vcc_lo
	s_delay_alu instid0(VALU_DEP_1) | instid1(SALU_CYCLE_1)
	v_cndmask_b32_e64 v2, v2, 0, s7
	s_delay_alu instid0(VALU_DEP_1)
	v_or_b32_e32 v118, v2, v5
.LBB2_643:                              ;   in Loop: Header=BB2_417 Depth=2
	s_or_b32 exec_lo, exec_lo, s19
                                        ; implicit-def: $vgpr5
.LBB2_644:                              ;   in Loop: Header=BB2_417 Depth=2
	s_and_not1_saveexec_b32 s7, s18
; %bb.645:                              ;   in Loop: Header=BB2_417 Depth=2
	v_or_b32_e32 v118, 0x7e, v5
; %bb.646:                              ;   in Loop: Header=BB2_417 Depth=2
	s_or_b32 exec_lo, exec_lo, s7
                                        ; implicit-def: $vgpr3
.LBB2_647:                              ;   in Loop: Header=BB2_417 Depth=2
	s_and_not1_saveexec_b32 s7, s17
; %bb.648:                              ;   in Loop: Header=BB2_417 Depth=2
	v_or_b32_e32 v118, 0x7f, v3
; %bb.649:                              ;   in Loop: Header=BB2_417 Depth=2
	s_or_b32 exec_lo, exec_lo, s7
	v_and_b32_e32 v2, 0xff000000, v4
	v_dual_mov_b32 v3, v55 :: v_dual_mov_b32 v5, 0
	s_delay_alu instid0(VALU_DEP_1)
	v_cmp_ne_u64_e32 vcc_lo, 0, v[2:3]
	v_mov_b32_e32 v2, 0
	s_and_saveexec_b32 s7, vcc_lo
	s_cbranch_execz .LBB2_657
; %bb.650:                              ;   in Loop: Header=BB2_417 Depth=2
	v_lshrrev_b32_e32 v119, 24, v4
	v_bfrev_b32_e32 v2, 1
	s_mov_b32 s17, exec_lo
	s_delay_alu instid0(VALU_DEP_2)
	v_cmpx_ne_u32_e32 0x80, v119
	s_cbranch_execz .LBB2_656
; %bb.651:                              ;   in Loop: Header=BB2_417 Depth=2
	v_bfe_u32 v46, v4, 24, 7
	v_mov_b32_e32 v2, 0x7f800001
	s_mov_b32 s18, exec_lo
	s_delay_alu instid0(VALU_DEP_2)
	v_cmpx_ne_u32_e32 0x7f, v46
	s_cbranch_execz .LBB2_655
; %bb.652:                              ;   in Loop: Header=BB2_417 Depth=2
	v_dual_mov_b32 v3, v55 :: v_dual_bitop2_b32 v2, 7, v119 bitop3:0x40
	v_lshrrev_b32_e32 v4, 3, v46
	s_mov_b32 s19, exec_lo
	v_cmpx_gt_u32_e32 8, v46
; %bb.653:                              ;   in Loop: Header=BB2_417 Depth=2
	s_delay_alu instid0(VALU_DEP_3) | instskip(NEXT) | instid1(VALU_DEP_1)
	v_clz_i32_u32_e32 v4, v2
	v_min_u32_e32 v4, 32, v4
	s_delay_alu instid0(VALU_DEP_1) | instskip(NEXT) | instid1(VALU_DEP_1)
	v_subrev_nc_u32_e32 v46, 28, v4
	v_lshlrev_b64_e32 v[2:3], v46, v[2:3]
	s_delay_alu instid0(VALU_DEP_1)
	v_dual_sub_nc_u32 v4, 29, v4 :: v_dual_bitop2_b32 v2, 7, v2 bitop3:0x40
; %bb.654:                              ;   in Loop: Header=BB2_417 Depth=2
	s_or_b32 exec_lo, exec_lo, s19
	s_delay_alu instid0(VALU_DEP_1) | instskip(NEXT) | instid1(VALU_DEP_2)
	v_dual_lshlrev_b32 v3, 24, v119 :: v_dual_lshlrev_b32 v2, 20, v2
	v_lshl_add_u32 v4, v4, 23, 0x3c000000
	s_delay_alu instid0(VALU_DEP_2) | instskip(NEXT) | instid1(VALU_DEP_1)
	v_and_b32_e32 v3, 0x80000000, v3
	v_or3_b32 v2, v2, v3, v4
.LBB2_655:                              ;   in Loop: Header=BB2_417 Depth=2
	s_or_b32 exec_lo, exec_lo, s18
.LBB2_656:                              ;   in Loop: Header=BB2_417 Depth=2
	s_delay_alu instid0(SALU_CYCLE_1)
	s_or_b32 exec_lo, exec_lo, s17
.LBB2_657:                              ;   in Loop: Header=BB2_417 Depth=2
	s_delay_alu instid0(SALU_CYCLE_1) | instskip(NEXT) | instid1(SALU_CYCLE_1)
	s_or_b32 exec_lo, exec_lo, s7
	s_mov_b32 s7, exec_lo
	v_cmpx_lt_u32_e32 0xffffff, v54
	s_cbranch_execz .LBB2_665
; %bb.658:                              ;   in Loop: Header=BB2_417 Depth=2
	v_lshrrev_b32_e32 v3, 24, v54
	v_bfrev_b32_e32 v5, 1
	s_mov_b32 s17, exec_lo
	s_delay_alu instid0(VALU_DEP_2)
	v_cmpx_ne_u32_e32 0x80, v3
	s_cbranch_execz .LBB2_664
; %bb.659:                              ;   in Loop: Header=BB2_417 Depth=2
	v_bfe_u32 v119, v54, 24, 7
	v_mov_b32_e32 v5, 0x7f800001
	s_mov_b32 s18, exec_lo
	s_delay_alu instid0(VALU_DEP_2)
	v_cmpx_ne_u32_e32 0x7f, v119
	s_cbranch_execz .LBB2_663
; %bb.660:                              ;   in Loop: Header=BB2_417 Depth=2
	v_and_b32_e32 v54, 7, v3
	v_lshrrev_b32_e32 v4, 3, v119
	s_mov_b32 s19, exec_lo
	v_cmpx_gt_u32_e32 8, v119
; %bb.661:                              ;   in Loop: Header=BB2_417 Depth=2
	s_delay_alu instid0(VALU_DEP_3) | instskip(NEXT) | instid1(VALU_DEP_1)
	v_clz_i32_u32_e32 v4, v54
	v_min_u32_e32 v4, 32, v4
	s_delay_alu instid0(VALU_DEP_1) | instskip(NEXT) | instid1(VALU_DEP_1)
	v_subrev_nc_u32_e32 v5, 28, v4
	v_lshlrev_b64_e32 v[46:47], v5, v[54:55]
	s_delay_alu instid0(VALU_DEP_1)
	v_dual_sub_nc_u32 v4, 29, v4 :: v_dual_bitop2_b32 v54, 7, v46 bitop3:0x40
; %bb.662:                              ;   in Loop: Header=BB2_417 Depth=2
	s_or_b32 exec_lo, exec_lo, s19
	s_delay_alu instid0(VALU_DEP_1) | instskip(NEXT) | instid1(VALU_DEP_2)
	v_dual_lshlrev_b32 v3, 24, v3 :: v_dual_lshlrev_b32 v5, 20, v54
	v_lshl_add_u32 v4, v4, 23, 0x3c000000
	s_delay_alu instid0(VALU_DEP_2) | instskip(NEXT) | instid1(VALU_DEP_1)
	v_and_b32_e32 v3, 0x80000000, v3
	v_or3_b32 v5, v5, v3, v4
.LBB2_663:                              ;   in Loop: Header=BB2_417 Depth=2
	s_or_b32 exec_lo, exec_lo, s18
.LBB2_664:                              ;   in Loop: Header=BB2_417 Depth=2
	s_delay_alu instid0(SALU_CYCLE_1)
	s_or_b32 exec_lo, exec_lo, s17
.LBB2_665:                              ;   in Loop: Header=BB2_417 Depth=2
	s_delay_alu instid0(SALU_CYCLE_1) | instskip(NEXT) | instid1(VALU_DEP_1)
	s_or_b32 exec_lo, exec_lo, s7
	v_add_f32_e32 v3, v2, v5
                                        ; implicit-def: $vgpr2
	s_mov_b32 s7, exec_lo
	s_delay_alu instid0(VALU_DEP_1) | instskip(SKIP_1) | instid1(VALU_DEP_2)
	v_and_b32_e32 v54, 0x7f800000, v3
	v_lshrrev_b32_e32 v4, 24, v3
	v_cmpx_ne_u64_e32 0x7f800000, v[54:55]
	s_xor_b32 s17, exec_lo, s7
	s_cbranch_execz .LBB2_679
; %bb.666:                              ;   in Loop: Header=BB2_417 Depth=2
	v_and_b32_e32 v54, 0x7fffffff, v3
	v_and_b32_e32 v119, 0x80, v4
                                        ; implicit-def: $vgpr2
	s_mov_b32 s7, exec_lo
	s_delay_alu instid0(VALU_DEP_2)
	v_cmpx_gt_u64_e32 0x43e00001, v[54:55]
	s_xor_b32 s18, exec_lo, s7
	s_cbranch_execz .LBB2_676
; %bb.667:                              ;   in Loop: Header=BB2_417 Depth=2
	v_mov_b32_e32 v2, 0
	s_mov_b32 s19, exec_lo
	v_cmpx_ne_u32_e32 0, v3
	s_cbranch_execz .LBB2_675
; %bb.668:                              ;   in Loop: Header=BB2_417 Depth=2
	v_bfe_u32 v46, v3, 23, 8
	v_and_b32_e32 v4, 0x7fffff, v3
	s_delay_alu instid0(VALU_DEP_2) | instskip(SKIP_1) | instid1(VALU_DEP_3)
	v_sub_nc_u32_e32 v2, 0x79, v46
	v_cmp_gt_u32_e32 vcc_lo, 0x7a, v46
	v_or_b32_e32 v5, 0x800000, v4
	s_delay_alu instid0(VALU_DEP_3) | instskip(SKIP_1) | instid1(VALU_DEP_2)
	v_cndmask_b32_e32 v2, 0, v2, vcc_lo
	v_cmp_eq_u32_e32 vcc_lo, 0, v46
	v_cndmask_b32_e64 v47, v2, 0x78, vcc_lo
	s_delay_alu instid0(VALU_DEP_1) | instskip(SKIP_1) | instid1(VALU_DEP_2)
	v_dual_cndmask_b32 v54, v5, v4, vcc_lo :: v_dual_add_nc_u32 v2, 20, v47
	v_add_nc_u32_e32 v58, 19, v47
	v_lshlrev_b64_e64 v[2:3], v2, -1
	s_delay_alu instid0(VALU_DEP_2) | instskip(NEXT) | instid1(VALU_DEP_2)
	v_lshlrev_b64_e64 v[4:5], v58, 1
	v_bfi_b32 v59, v3, 0, 0
	s_delay_alu instid0(VALU_DEP_3) | instskip(SKIP_1) | instid1(VALU_DEP_2)
	v_bfi_b32 v58, v2, 0, v54
	v_lshrrev_b64 v[2:3], v47, v[54:55]
	v_cmp_eq_u64_e64 s7, v[58:59], v[4:5]
	s_delay_alu instid0(VALU_DEP_2)
	v_mov_b64_e32 v[4:5], v[2:3]
	s_and_saveexec_b32 s20, s7
; %bb.669:                              ;   in Loop: Header=BB2_417 Depth=2
	v_bfe_u32 v54, v2, 20, 1
	s_delay_alu instid0(VALU_DEP_1) | instskip(NEXT) | instid1(VALU_DEP_1)
	v_add_nc_u64_e32 v[4:5], v[2:3], v[54:55]
	v_add_nc_u64_e32 v[4:5], -1, v[4:5]
; %bb.670:                              ;   in Loop: Header=BB2_417 Depth=2
	s_or_b32 exec_lo, exec_lo, s20
	v_add_nc_u32_e32 v3, 0xffffff81, v46
	v_lshrrev_b32_e32 v5, 23, v2
	s_mov_b32 s7, exec_lo
	s_delay_alu instid0(VALU_DEP_2) | instskip(NEXT) | instid1(VALU_DEP_1)
	v_cndmask_b32_e64 v3, v3, 0xffffff82, vcc_lo
	v_add3_u32 v5, v47, v3, v5
	v_and_b32_e32 v3, 0xfffff, v4
                                        ; implicit-def: $vgpr4
	s_delay_alu instid0(VALU_DEP_1) | instskip(NEXT) | instid1(VALU_DEP_1)
	v_dual_add_nc_u32 v46, 6, v5 :: v_dual_add_nc_u32 v54, v3, v2
                                        ; implicit-def: $vgpr2_vgpr3
	v_cmpx_ne_u32_e32 0, v46
	s_xor_b32 s7, exec_lo, s7
; %bb.671:                              ;   in Loop: Header=BB2_417 Depth=2
	s_delay_alu instid0(VALU_DEP_2) | instskip(SKIP_1) | instid1(VALU_DEP_1)
	v_cmp_lt_u64_e32 vcc_lo, 0xffffff, v[54:55]
	v_add_nc_u32_e32 v2, 7, v5
	v_cndmask_b32_e32 v4, v46, v2, vcc_lo
	v_cndmask_b32_e64 v2, 0, 1, vcc_lo
	s_delay_alu instid0(VALU_DEP_1)
	v_lshrrev_b64 v[2:3], v2, v[54:55]
; %bb.672:                              ;   in Loop: Header=BB2_417 Depth=2
	s_and_not1_saveexec_b32 s7, s7
; %bb.673:                              ;   in Loop: Header=BB2_417 Depth=2
	v_mov_b64_e32 v[2:3], v[54:55]
	v_bfe_u32 v4, v54, 23, 1
; %bb.674:                              ;   in Loop: Header=BB2_417 Depth=2
	s_or_b32 exec_lo, exec_lo, s7
	s_delay_alu instid0(VALU_DEP_2) | instskip(NEXT) | instid1(VALU_DEP_2)
	v_lshrrev_b64 v[2:3], 20, v[2:3]
	v_cmp_gt_i32_e32 vcc_lo, 16, v4
	v_min_i32_e32 v5, 15, v4
	v_cmp_eq_u32_e64 s7, 0, v4
	s_delay_alu instid0(VALU_DEP_2) | instskip(SKIP_1) | instid1(VALU_DEP_2)
	v_dual_cndmask_b32 v3, 0, v3, vcc_lo :: v_dual_lshlrev_b32 v5, 3, v5
	v_cndmask_b32_e32 v2, 7, v2, vcc_lo
	v_and_b32_e32 v5, 0xf8, v5
	s_delay_alu instid0(VALU_DEP_2) | instskip(NEXT) | instid1(VALU_DEP_2)
	v_cmp_eq_u64_e32 vcc_lo, 0, v[2:3]
	v_and_or_b32 v2, v2, 7, v5
	s_and_b32 s7, s7, vcc_lo
	s_delay_alu instid0(VALU_DEP_1) | instid1(SALU_CYCLE_1)
	v_cndmask_b32_e64 v2, v2, 0, s7
	s_delay_alu instid0(VALU_DEP_1)
	v_or_b32_e32 v2, v2, v119
.LBB2_675:                              ;   in Loop: Header=BB2_417 Depth=2
	s_or_b32 exec_lo, exec_lo, s19
                                        ; implicit-def: $vgpr119
.LBB2_676:                              ;   in Loop: Header=BB2_417 Depth=2
	s_and_not1_saveexec_b32 s7, s18
; %bb.677:                              ;   in Loop: Header=BB2_417 Depth=2
	v_or_b32_e32 v2, 0x7e, v119
; %bb.678:                              ;   in Loop: Header=BB2_417 Depth=2
	s_or_b32 exec_lo, exec_lo, s7
                                        ; implicit-def: $vgpr4
.LBB2_679:                              ;   in Loop: Header=BB2_417 Depth=2
	s_and_not1_saveexec_b32 s7, s17
; %bb.680:                              ;   in Loop: Header=BB2_417 Depth=2
	v_or_b32_e32 v2, 0x7f, v4
; %bb.681:                              ;   in Loop: Header=BB2_417 Depth=2
	s_or_b32 exec_lo, exec_lo, s7
	v_dual_lshlrev_b32 v3, 16, v40 :: v_dual_lshlrev_b32 v4, 16, v118
	s_delay_alu instid0(VALU_DEP_2) | instskip(SKIP_1) | instid1(VALU_DEP_3)
	v_dual_lshlrev_b32 v5, 24, v41 :: v_dual_lshlrev_b32 v54, 24, v2
	v_cmp_lt_u32_e32 vcc_lo, 7, v57
	v_lshl_or_b32 v2, v43, 8, v3
	s_delay_alu instid0(VALU_DEP_4) | instskip(SKIP_2) | instid1(VALU_DEP_2)
	v_lshl_or_b32 v3, v45, 8, v4
	s_mov_b32 s7, -1
	s_cmp_lg_u32 vcc_lo, exec_lo
	v_or3_b32 v2, v2, v5, v117
	s_delay_alu instid0(VALU_DEP_2)
	v_or3_b32 v3, v3, v54, v44
	s_cbranch_scc0 .LBB2_697
; %bb.682:                              ;   in Loop: Header=BB2_417 Depth=2
	s_mov_b32 s17, exec_lo
	flat_store_b8 v[18:19], v117
	s_wait_xcnt 0x0
	v_cmpx_ne_u32_e32 1, v57
	s_cbranch_execz .LBB2_684
; %bb.683:                              ;   in Loop: Header=BB2_417 Depth=2
	v_lshrrev_b32_e32 v4, 8, v2
	flat_store_b8 v[18:19], v4 offset:1
.LBB2_684:                              ;   in Loop: Header=BB2_417 Depth=2
	s_wait_xcnt 0x0
	s_or_b32 exec_lo, exec_lo, s17
	s_delay_alu instid0(SALU_CYCLE_1)
	s_mov_b32 s17, exec_lo
	v_cmpx_lt_u32_e32 2, v57
	s_cbranch_execz .LBB2_686
; %bb.685:                              ;   in Loop: Header=BB2_417 Depth=2
	flat_store_d16_hi_b8 v[18:19], v2 offset:2
.LBB2_686:                              ;   in Loop: Header=BB2_417 Depth=2
	s_wait_xcnt 0x0
	s_or_b32 exec_lo, exec_lo, s17
	s_delay_alu instid0(SALU_CYCLE_1)
	s_mov_b32 s17, exec_lo
	v_cmpx_lt_u32_e32 3, v57
	s_cbranch_execz .LBB2_688
; %bb.687:                              ;   in Loop: Header=BB2_417 Depth=2
	v_lshrrev_b32_e32 v4, 24, v2
	flat_store_b8 v[18:19], v4 offset:3
.LBB2_688:                              ;   in Loop: Header=BB2_417 Depth=2
	s_wait_xcnt 0x0
	s_or_b32 exec_lo, exec_lo, s17
	s_delay_alu instid0(SALU_CYCLE_1)
	s_mov_b32 s17, exec_lo
	v_cmpx_lt_u32_e32 4, v57
	s_cbranch_execz .LBB2_690
; %bb.689:                              ;   in Loop: Header=BB2_417 Depth=2
	flat_store_b8 v[18:19], v44 offset:4
.LBB2_690:                              ;   in Loop: Header=BB2_417 Depth=2
	s_wait_xcnt 0x0
	s_or_b32 exec_lo, exec_lo, s17
	s_delay_alu instid0(SALU_CYCLE_1)
	s_mov_b32 s17, exec_lo
	v_cmpx_lt_u32_e32 5, v57
	s_cbranch_execz .LBB2_692
; %bb.691:                              ;   in Loop: Header=BB2_417 Depth=2
	v_lshrrev_b32_e32 v4, 8, v3
	flat_store_b8 v[18:19], v4 offset:5
.LBB2_692:                              ;   in Loop: Header=BB2_417 Depth=2
	s_wait_xcnt 0x0
	s_or_b32 exec_lo, exec_lo, s17
	s_delay_alu instid0(SALU_CYCLE_1)
	s_mov_b32 s17, exec_lo
	v_cmpx_lt_u32_e32 6, v57
	s_cbranch_execz .LBB2_694
; %bb.693:                              ;   in Loop: Header=BB2_417 Depth=2
	flat_store_d16_hi_b8 v[18:19], v3 offset:6
.LBB2_694:                              ;   in Loop: Header=BB2_417 Depth=2
	s_wait_xcnt 0x0
	s_or_b32 exec_lo, exec_lo, s17
	s_and_saveexec_b32 s7, vcc_lo
	s_cbranch_execz .LBB2_696
; %bb.695:                              ;   in Loop: Header=BB2_417 Depth=2
	v_lshrrev_b32_e32 v4, 24, v3
	flat_store_b8 v[18:19], v4 offset:7
.LBB2_696:                              ;   in Loop: Header=BB2_417 Depth=2
	s_wait_xcnt 0x0
	s_or_b32 exec_lo, exec_lo, s7
	s_mov_b32 s7, 0
.LBB2_697:                              ;   in Loop: Header=BB2_417 Depth=2
	s_delay_alu instid0(SALU_CYCLE_1)
	s_and_b32 vcc_lo, exec_lo, s7
	s_cbranch_vccz .LBB2_416
; %bb.698:                              ;   in Loop: Header=BB2_417 Depth=2
	global_store_b64 v[18:19], v[2:3], off
	s_branch .LBB2_416
.LBB2_699:                              ;   in Loop: Header=BB2_36 Depth=1
	s_or_b32 exec_lo, exec_lo, s16
	s_delay_alu instid0(SALU_CYCLE_1)
	s_or_b32 exec_lo, exec_lo, s8
	s_and_saveexec_b32 s7, s3
	s_cbranch_execz .LBB2_414
.LBB2_700:                              ;   in Loop: Header=BB2_36 Depth=1
	s_and_saveexec_b32 s8, s4
	s_delay_alu instid0(SALU_CYCLE_1)
	s_xor_b32 s8, exec_lo, s8
	s_cbranch_execz .LBB2_715
; %bb.701:                              ;   in Loop: Header=BB2_36 Depth=1
	s_and_saveexec_b32 s16, s5
	s_cbranch_execz .LBB2_714
; %bb.702:                              ;   in Loop: Header=BB2_36 Depth=1
	s_mov_b32 s18, exec_lo
	s_mov_b32 s17, exec_lo
	v_mbcnt_lo_u32_b32 v2, s18, 0
	global_wb scope:SCOPE_DEV
	s_wait_storecnt 0x0
	s_wait_loadcnt_dscnt 0x0
	global_inv scope:SCOPE_DEV
	v_cmpx_eq_u32_e32 0, v2
	s_cbranch_execz .LBB2_704
; %bb.703:                              ;   in Loop: Header=BB2_36 Depth=1
	s_bcnt1_i32_b32 s18, s18
	s_delay_alu instid0(SALU_CYCLE_1)
	v_mov_b32_e32 v54, s18
	s_wait_loadcnt 0x0
	ds_add_u64 v0, v[54:55]
	s_trap 2
.LBB2_704:                              ;   in Loop: Header=BB2_36 Depth=1
	s_or_b32 exec_lo, exec_lo, s17
	s_trap 2
	ds_load_b64 v[2:3], v0
	s_wait_dscnt 0x0
	v_add_nc_u64_e32 v[52:53], v[52:53], v[84:85]
	s_mov_b32 s17, exec_lo
	s_delay_alu instid0(VALU_DEP_1)
	v_cmpx_lt_u64_e64 v[2:3], v[52:53]
	s_cbranch_execz .LBB2_713
; %bb.705:                              ;   in Loop: Header=BB2_36 Depth=1
	s_mov_b32 s18, 0
	s_mov_b32 s21, 0
                                        ; implicit-def: $sgpr19
                                        ; implicit-def: $sgpr20
	s_branch .LBB2_707
.LBB2_706:                              ;   in Loop: Header=BB2_707 Depth=2
	s_or_b32 exec_lo, exec_lo, s23
	s_delay_alu instid0(SALU_CYCLE_1) | instskip(NEXT) | instid1(SALU_CYCLE_1)
	s_and_b32 s22, exec_lo, s24
	s_or_b32 s18, s22, s18
	s_and_not1_b32 s19, s19, exec_lo
	s_and_b32 s22, s20, exec_lo
	s_delay_alu instid0(SALU_CYCLE_1)
	s_or_b32 s19, s19, s22
	s_and_not1_b32 exec_lo, exec_lo, s18
	s_cbranch_execz .LBB2_711
.LBB2_707:                              ;   Parent Loop BB2_36 Depth=1
                                        ; =>  This Inner Loop Header: Depth=2
	s_add_co_i32 s21, s21, 1
	s_delay_alu instid0(SALU_CYCLE_1) | instskip(SKIP_1) | instid1(SALU_CYCLE_1)
	s_cmp_lg_u32 s21, 0x2710
	s_cselect_b32 s22, -1, 0
	s_and_b32 vcc_lo, exec_lo, s22
	s_cbranch_vccz .LBB2_709
; %bb.708:                              ;   in Loop: Header=BB2_707 Depth=2
	s_mov_b32 s24, -1
	s_or_b32 s20, s20, exec_lo
	s_and_saveexec_b32 s23, s22
	s_cbranch_execz .LBB2_706
	s_branch .LBB2_710
.LBB2_709:                              ;   in Loop: Header=BB2_707 Depth=2
	s_trap 2
	ds_load_b64 v[2:3], v0
	s_and_not1_b32 s22, s22, exec_lo
	s_mov_b32 s21, 0
	s_wait_loadcnt_dscnt 0x0
	flat_load_b32 v2, v[2:3] scope:SCOPE_SYS
	s_wait_loadcnt_dscnt 0x0
	global_inv scope:SCOPE_SYS
	v_cmp_eq_u32_e32 vcc_lo, 0, v2
	s_and_b32 s23, vcc_lo, exec_lo
	s_delay_alu instid0(SALU_CYCLE_1)
	s_or_b32 s22, s22, s23
	s_mov_b32 s24, -1
	s_or_b32 s20, s20, exec_lo
	s_and_saveexec_b32 s23, s22
	s_cbranch_execz .LBB2_706
.LBB2_710:                              ;   in Loop: Header=BB2_707 Depth=2
	s_sleep 1
	s_trap 2
	ds_load_b64 v[2:3], v0
	s_wait_dscnt 0x0
	s_and_not1_b32 s20, s20, exec_lo
	v_cmp_ge_u64_e32 vcc_lo, v[2:3], v[52:53]
	s_or_not1_b32 s24, vcc_lo, exec_lo
	s_branch .LBB2_706
.LBB2_711:                              ;   in Loop: Header=BB2_36 Depth=1
	s_or_b32 exec_lo, exec_lo, s18
	s_and_saveexec_b32 s18, s19
	s_delay_alu instid0(SALU_CYCLE_1)
	s_xor_b32 s18, exec_lo, s18
	s_cbranch_execz .LBB2_713
; %bb.712:                              ;   in Loop: Header=BB2_36 Depth=1
	ds_store_b32 v0, v1
	s_trap 2
.LBB2_713:                              ;   in Loop: Header=BB2_36 Depth=1
	s_or_b32 exec_lo, exec_lo, s17
	;;#ASMSTART
	s_wakeup
	;;#ASMEND
.LBB2_714:                              ;   in Loop: Header=BB2_36 Depth=1
	s_or_b32 exec_lo, exec_lo, s16
.LBB2_715:                              ;   in Loop: Header=BB2_36 Depth=1
	s_and_not1_saveexec_b32 s8, s8
	s_cbranch_execz .LBB2_717
; %bb.716:                              ;   in Loop: Header=BB2_36 Depth=1
	global_wb scope:SCOPE_DEV
	s_wait_storecnt 0x0
	s_wait_loadcnt_dscnt 0x0
	global_inv scope:SCOPE_DEV
	s_barrier_signal -1
	s_barrier_wait -1
.LBB2_717:                              ;   in Loop: Header=BB2_36 Depth=1
	s_or_b32 exec_lo, exec_lo, s8
	s_delay_alu instid0(SALU_CYCLE_1)
	s_or_b32 exec_lo, exec_lo, s7
	s_and_saveexec_b32 s7, s6
	s_cbranch_execz .LBB2_35
.LBB2_718:                              ;   in Loop: Header=BB2_36 Depth=1
	v_add_nc_u64_e32 v[38:39], 1, v[38:39]
	global_wb scope:SCOPE_SYS
	s_wait_storecnt 0x0
	s_wait_loadcnt_dscnt 0x0
	flat_store_b64 v[48:49], v[38:39] scope:SCOPE_SYS
	s_branch .LBB2_35
.LBB2_719:
	s_or_b32 exec_lo, exec_lo, s14
	s_delay_alu instid0(SALU_CYCLE_1)
	s_or_b32 exec_lo, exec_lo, s12
	s_and_saveexec_b32 s1, s9
	s_cbranch_execz .LBB2_20
.LBB2_720:
	s_wait_dscnt 0x0
	flat_store_b64 v[28:29], v[38:39] offset:104
	s_wait_xcnt 0x0
	s_or_b32 exec_lo, exec_lo, s1
	s_and_saveexec_b32 s1, s0
	s_cbranch_execnz .LBB2_21
	s_branch .LBB2_22
.LBB2_721:
	s_or_b32 exec_lo, exec_lo, s4
	s_and_saveexec_b32 s4, s5
	s_delay_alu instid0(SALU_CYCLE_1)
	s_xor_b32 s4, exec_lo, s4
	s_cbranch_execz .LBB2_723
; %bb.722:
	v_mov_b32_e32 v0, 1
	ds_store_b32 v0, v0
	s_trap 2
.LBB2_723:
	s_or_b32 exec_lo, exec_lo, s3
	;;#ASMSTART
	s_wakeup
	;;#ASMEND
.LBB2_724:
	s_or_b32 exec_lo, exec_lo, s2
.LBB2_725:
	s_and_not1_saveexec_b32 s1, s1
	s_cbranch_execz .LBB2_727
; %bb.726:
	global_wb scope:SCOPE_DEV
	s_wait_storecnt 0x0
	s_wait_loadcnt_dscnt 0x0
	global_inv scope:SCOPE_DEV
	s_barrier_signal -1
	s_barrier_wait -1
.LBB2_727:
	s_or_b32 exec_lo, exec_lo, s0
	s_clause 0x17
	scratch_load_b32 v79, off, s32
	scratch_load_b32 v78, off, s32 offset:4
	scratch_load_b32 v77, off, s32 offset:8
	;; [unrolled: 1-line block ×23, first 2 shown]
	s_wait_loadcnt_dscnt 0x0
	s_set_pc_i64 s[30:31]
.Lfunc_end2:
	.size	_ZN12_GLOBAL__N_17runRingI14__hip_fp8_e4m37FuncSumIS1_E7ProtoLLLi0ELi2ELi0EEEviiP15ncclDevWorkColl, .Lfunc_end2-_ZN12_GLOBAL__N_17runRingI14__hip_fp8_e4m37FuncSumIS1_E7ProtoLLLi0ELi2ELi0EEEviiP15ncclDevWorkColl
                                        ; -- End function
	.set .L_ZN12_GLOBAL__N_17runRingI14__hip_fp8_e4m37FuncSumIS1_E7ProtoLLLi0ELi2ELi0EEEviiP15ncclDevWorkColl.num_vgpr, 120
	.set .L_ZN12_GLOBAL__N_17runRingI14__hip_fp8_e4m37FuncSumIS1_E7ProtoLLLi0ELi2ELi0EEEviiP15ncclDevWorkColl.num_agpr, 0
	.set .L_ZN12_GLOBAL__N_17runRingI14__hip_fp8_e4m37FuncSumIS1_E7ProtoLLLi0ELi2ELi0EEEviiP15ncclDevWorkColl.numbered_sgpr, 33
	.set .L_ZN12_GLOBAL__N_17runRingI14__hip_fp8_e4m37FuncSumIS1_E7ProtoLLLi0ELi2ELi0EEEviiP15ncclDevWorkColl.num_named_barrier, 0
	.set .L_ZN12_GLOBAL__N_17runRingI14__hip_fp8_e4m37FuncSumIS1_E7ProtoLLLi0ELi2ELi0EEEviiP15ncclDevWorkColl.private_seg_size, 100
	.set .L_ZN12_GLOBAL__N_17runRingI14__hip_fp8_e4m37FuncSumIS1_E7ProtoLLLi0ELi2ELi0EEEviiP15ncclDevWorkColl.uses_vcc, 1
	.set .L_ZN12_GLOBAL__N_17runRingI14__hip_fp8_e4m37FuncSumIS1_E7ProtoLLLi0ELi2ELi0EEEviiP15ncclDevWorkColl.uses_flat_scratch, 1
	.set .L_ZN12_GLOBAL__N_17runRingI14__hip_fp8_e4m37FuncSumIS1_E7ProtoLLLi0ELi2ELi0EEEviiP15ncclDevWorkColl.has_dyn_sized_stack, 0
	.set .L_ZN12_GLOBAL__N_17runRingI14__hip_fp8_e4m37FuncSumIS1_E7ProtoLLLi0ELi2ELi0EEEviiP15ncclDevWorkColl.has_recursion, 0
	.set .L_ZN12_GLOBAL__N_17runRingI14__hip_fp8_e4m37FuncSumIS1_E7ProtoLLLi0ELi2ELi0EEEviiP15ncclDevWorkColl.has_indirect_call, 0
	.section	.AMDGPU.csdata,"",@progbits
; Function info:
; codeLenInByte = 24276
; TotalNumSgprs: 35
; NumVgprs: 120
; ScratchSize: 100
; MemoryBound: 0
	.text
	.p2align	2                               ; -- Begin function _Z50ncclDevFunc_ReduceScatter_RING_LL_Sum_f8e4m3_0_0_2v
	.type	_Z50ncclDevFunc_ReduceScatter_RING_LL_Sum_f8e4m3_0_0_2v,@function
_Z50ncclDevFunc_ReduceScatter_RING_LL_Sum_f8e4m3_0_0_2v: ; @_Z50ncclDevFunc_ReduceScatter_RING_LL_Sum_f8e4m3_0_0_2v
; %bb.0:
	s_wait_loadcnt_dscnt 0x0
	s_wait_kmcnt 0x0
	s_mov_b32 s46, s33
	s_mov_b32 s33, s32
	s_or_saveexec_b32 s0, -1
	scratch_store_b32 off, v41, s33 offset:4 ; 4-byte Folded Spill
	s_wait_xcnt 0x0
	s_mov_b32 exec_lo, s0
	s_add_co_i32 s32, s32, 16
	scratch_store_b32 off, v40, s33         ; 4-byte Folded Spill
	v_writelane_b32 v41, s30, 0
	v_writelane_b32 v41, s31, 1
	s_trap 2
	ds_load_b32 v0, v0
	s_wait_dscnt 0x0
	v_cmp_gt_i32_e32 vcc_lo, 1, v0
	s_cbranch_vccnz .LBB3_8
; %bb.1:
	s_wait_xcnt 0x0
	v_and_b32_e32 v40, 0x3ff, v31
	s_mov_b32 s29, s12
	s_mov_b64 s[40:41], s[8:9]
	s_mov_b32 s44, 0
	s_get_pc_i64 s[42:43]
	s_add_nc_u64 s[42:43], s[42:43], _ZN12_GLOBAL__N_17runRingI14__hip_fp8_e4m37FuncSumIS1_E7ProtoLLLi0ELi2ELi0EEEviiP15ncclDevWorkColl@rel64+4
	s_branch .LBB3_3
.LBB3_2:                                ;   in Loop: Header=BB3_3 Depth=1
	s_or_b32 exec_lo, exec_lo, s45
	s_trap 2
	ds_load_b32 v0, v0
	s_add_co_i32 s44, s44, 1
	s_wait_dscnt 0x0
	v_cmp_lt_i32_e32 vcc_lo, s44, v0
	s_cbranch_vccz .LBB3_8
.LBB3_3:                                ; =>This Inner Loop Header: Depth=1
	s_trap 2
	ds_load_b32 v0, v0
	s_cmp_eq_u32 s44, 0
	s_cbranch_scc1 .LBB3_6
; %bb.4:                                ;   in Loop: Header=BB3_3 Depth=1
	s_trap 2
	s_wait_dscnt 0x0
	ds_load_b32 v1, v0
	s_wait_dscnt 0x0
	v_xor_b32_e32 v1, v1, v0
	s_delay_alu instid0(VALU_DEP_1) | instskip(NEXT) | instid1(VALU_DEP_1)
	v_and_b32_e32 v1, 0xff0000, v1
	v_cmp_eq_u32_e32 vcc_lo, 0, v1
	s_cbranch_vccnz .LBB3_6
; %bb.5:                                ;   in Loop: Header=BB3_3 Depth=1
	s_wait_storecnt 0x0
	s_barrier_signal -1
	s_barrier_wait -1
	ds_load_b32 v0, v0
.LBB3_6:                                ;   in Loop: Header=BB3_3 Depth=1
	s_wait_dscnt 0x0
	v_lshrrev_b32_e32 v0, 11, v0
	s_mov_b32 s45, exec_lo
	s_delay_alu instid0(VALU_DEP_1) | instskip(NEXT) | instid1(VALU_DEP_1)
	v_and_b32_e32 v1, 0x1fe0, v0
	v_cmpx_lt_u32_e64 v40, v1
	s_cbranch_execz .LBB3_2
; %bb.7:                                ;   in Loop: Header=BB3_3 Depth=1
	s_mov_b64 s[0:1], src_shared_base
	s_delay_alu instid0(SALU_CYCLE_1)
	v_dual_mov_b32 v0, v40 :: v_dual_mov_b32 v3, s1
	s_mov_b64 s[8:9], s[40:41]
	s_mov_b32 s12, s29
	s_swap_pc_i64 s[30:31], s[42:43]
	s_branch .LBB3_2
.LBB3_8:
	scratch_load_b32 v40, off, s33          ; 4-byte Folded Reload
	v_readlane_b32 s30, v41, 0
	v_readlane_b32 s31, v41, 1
	s_mov_b32 s32, s33
	s_wait_xcnt 0x0
	s_or_saveexec_b32 s0, -1
	scratch_load_b32 v41, off, s33 offset:4 ; 4-byte Folded Reload
	s_wait_xcnt 0x0
	s_mov_b32 exec_lo, s0
	s_mov_b32 s33, s46
	s_wait_loadcnt 0x0
	s_set_pc_i64 s[30:31]
.Lfunc_end3:
	.size	_Z50ncclDevFunc_ReduceScatter_RING_LL_Sum_f8e4m3_0_0_2v, .Lfunc_end3-_Z50ncclDevFunc_ReduceScatter_RING_LL_Sum_f8e4m3_0_0_2v
                                        ; -- End function
	.set .L_Z50ncclDevFunc_ReduceScatter_RING_LL_Sum_f8e4m3_0_0_2v.num_vgpr, max(42, .L_ZN12_GLOBAL__N_17runRingI14__hip_fp8_e4m37FuncSumIS1_E7ProtoLLLi0ELi2ELi0EEEviiP15ncclDevWorkColl.num_vgpr)
	.set .L_Z50ncclDevFunc_ReduceScatter_RING_LL_Sum_f8e4m3_0_0_2v.num_agpr, max(0, .L_ZN12_GLOBAL__N_17runRingI14__hip_fp8_e4m37FuncSumIS1_E7ProtoLLLi0ELi2ELi0EEEviiP15ncclDevWorkColl.num_agpr)
	.set .L_Z50ncclDevFunc_ReduceScatter_RING_LL_Sum_f8e4m3_0_0_2v.numbered_sgpr, max(47, .L_ZN12_GLOBAL__N_17runRingI14__hip_fp8_e4m37FuncSumIS1_E7ProtoLLLi0ELi2ELi0EEEviiP15ncclDevWorkColl.numbered_sgpr)
	.set .L_Z50ncclDevFunc_ReduceScatter_RING_LL_Sum_f8e4m3_0_0_2v.num_named_barrier, max(0, .L_ZN12_GLOBAL__N_17runRingI14__hip_fp8_e4m37FuncSumIS1_E7ProtoLLLi0ELi2ELi0EEEviiP15ncclDevWorkColl.num_named_barrier)
	.set .L_Z50ncclDevFunc_ReduceScatter_RING_LL_Sum_f8e4m3_0_0_2v.private_seg_size, 16+max(.L_ZN12_GLOBAL__N_17runRingI14__hip_fp8_e4m37FuncSumIS1_E7ProtoLLLi0ELi2ELi0EEEviiP15ncclDevWorkColl.private_seg_size)
	.set .L_Z50ncclDevFunc_ReduceScatter_RING_LL_Sum_f8e4m3_0_0_2v.uses_vcc, or(1, .L_ZN12_GLOBAL__N_17runRingI14__hip_fp8_e4m37FuncSumIS1_E7ProtoLLLi0ELi2ELi0EEEviiP15ncclDevWorkColl.uses_vcc)
	.set .L_Z50ncclDevFunc_ReduceScatter_RING_LL_Sum_f8e4m3_0_0_2v.uses_flat_scratch, or(0, .L_ZN12_GLOBAL__N_17runRingI14__hip_fp8_e4m37FuncSumIS1_E7ProtoLLLi0ELi2ELi0EEEviiP15ncclDevWorkColl.uses_flat_scratch)
	.set .L_Z50ncclDevFunc_ReduceScatter_RING_LL_Sum_f8e4m3_0_0_2v.has_dyn_sized_stack, or(0, .L_ZN12_GLOBAL__N_17runRingI14__hip_fp8_e4m37FuncSumIS1_E7ProtoLLLi0ELi2ELi0EEEviiP15ncclDevWorkColl.has_dyn_sized_stack)
	.set .L_Z50ncclDevFunc_ReduceScatter_RING_LL_Sum_f8e4m3_0_0_2v.has_recursion, or(1, .L_ZN12_GLOBAL__N_17runRingI14__hip_fp8_e4m37FuncSumIS1_E7ProtoLLLi0ELi2ELi0EEEviiP15ncclDevWorkColl.has_recursion)
	.set .L_Z50ncclDevFunc_ReduceScatter_RING_LL_Sum_f8e4m3_0_0_2v.has_indirect_call, or(0, .L_ZN12_GLOBAL__N_17runRingI14__hip_fp8_e4m37FuncSumIS1_E7ProtoLLLi0ELi2ELi0EEEviiP15ncclDevWorkColl.has_indirect_call)
	.section	.AMDGPU.csdata,"",@progbits
; Function info:
; codeLenInByte = 396
; TotalNumSgprs: 49
; NumVgprs: 120
; ScratchSize: 116
; MemoryBound: 0
	.text
	.p2align	2                               ; -- Begin function _ZN12_GLOBAL__N_17runRingI14__hip_fp8_e4m37FuncSumIS1_E7ProtoLLLi0ELi4ELi0EEEviiP15ncclDevWorkColl
	.type	_ZN12_GLOBAL__N_17runRingI14__hip_fp8_e4m37FuncSumIS1_E7ProtoLLLi0ELi4ELi0EEEviiP15ncclDevWorkColl,@function
_ZN12_GLOBAL__N_17runRingI14__hip_fp8_e4m37FuncSumIS1_E7ProtoLLLi0ELi4ELi0EEEviiP15ncclDevWorkColl: ; @_ZN12_GLOBAL__N_17runRingI14__hip_fp8_e4m37FuncSumIS1_E7ProtoLLLi0ELi4ELi0EEEviiP15ncclDevWorkColl
; %bb.0:
	s_wait_loadcnt_dscnt 0x0
	s_wait_kmcnt 0x0
	s_clause 0x17
	scratch_store_b32 off, v40, s32 offset:92
	; meta instruction
	scratch_store_b32 off, v41, s32 offset:88
	; meta instruction
	;; [unrolled: 2-line block ×23, first 2 shown]
	scratch_store_b32 off, v79, s32
	s_trap 2
	s_clause 0x2
	flat_load_b32 v12, v[2:3]
	flat_load_b128 v[4:7], v[2:3] offset:72
	flat_load_b64 v[68:69], v[2:3] offset:88
	v_mov_b32_e32 v20, v1
	ds_load_b32 v8, v0
	ds_load_b64 v[22:23], v0
	s_mov_b32 s0, exec_lo
                                        ; implicit-def: $vgpr54_vgpr55
                                        ; implicit-def: $vgpr24_vgpr25
	s_wait_dscnt 0x1
	v_readfirstlane_b32 s10, v8
	s_wait_loadcnt 0x2
	v_bfe_u32 v9, v12, 8, 8
	v_bitop3_b32 v1, v12, 0xff, v12 bitop3:0x3f
	s_delay_alu instid0(VALU_DEP_1) | instskip(NEXT) | instid1(VALU_DEP_1)
	v_add_nc_u32_e32 v10, v9, v1
	v_ashrrev_i32_e32 v11, 31, v10
	s_wait_loadcnt 0x1
	s_delay_alu instid0(VALU_DEP_1) | instskip(SKIP_2) | instid1(VALU_DEP_1)
	v_mul_u64_e32 v[18:19], v[6:7], v[10:11]
	v_and_b32_e32 v10, 0xff, v12
	s_wait_xcnt 0x0
	v_cmpx_ne_u32_e64 v8, v10
	s_xor_b32 s0, exec_lo, s0
	s_cbranch_execz .LBB4_6
; %bb.1:
	s_mov_b32 s1, exec_lo
                                        ; implicit-def: $vgpr54_vgpr55
                                        ; implicit-def: $vgpr24_vgpr25
	v_cmpx_ne_u32_e64 v8, v9
	s_xor_b32 s1, exec_lo, s1
	s_cbranch_execz .LBB4_3
; %bb.2:
	flat_load_b64 v[10:11], v[2:3] offset:96
	v_add_nc_u32_e32 v1, v8, v1
	s_delay_alu instid0(VALU_DEP_1) | instskip(NEXT) | instid1(VALU_DEP_1)
	v_mad_nc_u64_u32 v[24:25], v6, v1, v[4:5]
	v_mad_u32 v8, v7, v1, v25
	v_ashrrev_i32_e32 v1, 31, v1
	s_delay_alu instid0(VALU_DEP_1)
	v_mad_u32 v25, v6, v1, v8
	s_wait_loadcnt_dscnt 0x0
	v_lshrrev_b64 v[54:55], 17, v[10:11]
.LBB4_3:
	s_wait_xcnt 0x0
	s_and_not1_saveexec_b32 s1, s1
	s_cbranch_execz .LBB4_5
; %bb.4:
	flat_load_b32 v1, v[2:3] offset:100
	v_add_nc_u64_e32 v[24:25], v[18:19], v[4:5]
	s_wait_loadcnt 0x1
	v_mov_b64_e32 v[6:7], v[68:69]
	s_wait_loadcnt_dscnt 0x0
	v_lshrrev_b32_e32 v54, 6, v1
.LBB4_5:
	s_wait_xcnt 0x0
	s_or_b32 exec_lo, exec_lo, s1
.LBB4_6:
	s_and_not1_saveexec_b32 s0, s0
	s_cbranch_execz .LBB4_8
; %bb.7:
	flat_load_b64 v[6:7], v[2:3] offset:96
	v_mov_b64_e32 v[24:25], 0
	s_wait_loadcnt_dscnt 0x0
	v_lshlrev_b64_e32 v[54:55], 4, v[6:7]
	v_mov_b64_e32 v[6:7], v[4:5]
.LBB4_8:
	s_wait_xcnt 0x0
	s_or_b32 exec_lo, exec_lo, s0
	s_load_b32 s0, s[8:9], 0x0
	s_clause 0x1
	flat_load_u16 v13, v[2:3] offset:8
	flat_load_b32 v12, v[2:3] offset:4
	s_bfe_u32 s1, ttmp6, 0x4000c
	s_and_b32 s2, ttmp6, 15
	s_add_co_i32 s1, s1, 1
	s_getreg_b32 s3, hwreg(HW_REG_IB_STS2, 6, 4)
	s_mul_i32 s1, ttmp9, s1
	v_mov_b32_e32 v1, 0
	s_add_co_i32 s2, s2, s1
	s_cmp_eq_u32 s3, 0
	s_mov_b32 s1, 0
	s_cselect_b32 s2, ttmp9, s2
	v_mov_b64_e32 v[26:27], 0
	s_wait_kmcnt 0x0
	s_cmp_lt_u32 s2, s0
	s_cselect_b32 s0, 12, 18
	s_delay_alu instid0(SALU_CYCLE_1)
	s_add_nc_u64 s[2:3], s[8:9], s[0:1]
	flat_load_b128 v[8:11], v[2:3] offset:16
	global_load_u16 v21, v1, s[2:3]
	s_wait_xcnt 0x0
	v_ashrrev_i32_e32 v1, 31, v0
	s_trap 2
	ds_load_b32 v2, v0
	v_lshrrev_b32_e32 v3, 27, v1
	s_delay_alu instid0(VALU_DEP_1) | instskip(NEXT) | instid1(VALU_DEP_1)
	v_add_nc_u32_e32 v3, v0, v3
	v_and_b32_e32 v3, 0xffffffe0, v3
	s_wait_dscnt 0x0
	v_cmp_gt_i32_e32 vcc_lo, 0, v2
	v_readfirstlane_b32 s2, v2
	s_and_b32 vcc_lo, exec_lo, vcc_lo
	s_wait_loadcnt 0x2
	v_lshrrev_b64 v[14:15], 31, v[12:13]
	v_sub_nc_u32_e32 v12, v0, v3
	s_delay_alu instid0(VALU_DEP_1) | instskip(NEXT) | instid1(VALU_DEP_3)
	v_cmp_eq_u32_e64 s0, 0, v12
	v_and_b32_e32 v3, 3, v14
	s_delay_alu instid0(VALU_DEP_1)
	v_and_b32_e32 v13, 0xffff, v3
	s_cbranch_vccnz .LBB4_10
; %bb.9:
	s_trap 2
	ds_load_b64 v[14:15], v0
	s_mov_b32 s1, 1
	s_wait_dscnt 0x0
	v_readfirstlane_b32 s4, v14
	v_readfirstlane_b32 s5, v15
	flat_load_b64 v[2:3], v2, s[4:5] scale_offset
	s_wait_loadcnt_dscnt 0x0
	v_mad_nc_u64_u32 v[2:3], 0xa8, v13, v[2:3]
	s_clause 0x1
	flat_load_b64 v[32:33], v[2:3] offset:504
	flat_load_b64 v[34:35], v[2:3] offset:608
	v_add_nc_u64_e32 v[28:29], 0x1f8, v[2:3]
	s_wait_xcnt 0x0
	s_delay_alu instid0(VALU_DEP_1)
	v_dual_cndmask_b32 v3, 0, v29, s0 :: v_dual_cndmask_b32 v2, 0, v28, s0
	s_branch .LBB4_11
.LBB4_10:
	v_mov_b64_e32 v[28:29], 0
	v_mov_b64_e32 v[2:3], 0
                                        ; implicit-def: $vgpr34_vgpr35
                                        ; implicit-def: $vgpr32_vgpr33
.LBB4_11:
	s_trap 2
	ds_load_b32 v14, v0
	s_wait_dscnt 0x0
	v_cmp_gt_i32_e32 vcc_lo, 0, v14
	s_cbranch_vccnz .LBB4_13
; %bb.12:
	s_trap 2
	ds_load_b64 v[16:17], v0
	v_cmp_eq_u32_e32 vcc_lo, 0, v12
	s_wait_dscnt 0x0
	v_readfirstlane_b32 s4, v16
	v_readfirstlane_b32 s5, v17
	flat_load_b64 v[14:15], v14, s[4:5] scale_offset
	s_wait_loadcnt_dscnt 0x0
	v_mad_nc_u64_u32 v[26:27], 0xa8, v13, v[14:15]
	s_clause 0x1
	flat_load_b64 v[36:37], v[26:27]
	flat_load_b64 v[16:17], v[26:27] offset:104
	v_dual_cndmask_b32 v53, 0, v27 :: v_dual_cndmask_b32 v52, 0, v26
	s_branch .LBB4_14
.LBB4_13:
	v_mov_b64_e32 v[52:53], 0
                                        ; implicit-def: $vgpr16_vgpr17
                                        ; implicit-def: $vgpr36_vgpr37
.LBB4_14:
	s_wait_xcnt 0x2
	v_subrev_nc_u32_e32 v14, 32, v20
	v_cmp_gt_i32_e32 vcc_lo, s1, v12
	v_mov_b64_e32 v[12:13], 0
	v_mov_b64_e32 v[48:49], 0
                                        ; implicit-def: $vgpr38_vgpr39
	s_delay_alu instid0(VALU_DEP_4)
	v_cmp_ge_i32_e64 s0, v0, v14
	s_and_b32 s9, s0, vcc_lo
	s_wait_xcnt 0x0
	s_and_saveexec_b32 s0, s9
	s_cbranch_execz .LBB4_16
; %bb.15:
	s_clause 0x1
	flat_load_b64 v[48:49], v[2:3] offset:56
	flat_load_b64 v[38:39], v[2:3] offset:104
.LBB4_16:
	s_wait_xcnt 0x0
	s_or_b32 exec_lo, exec_lo, s0
	v_mov_b64_e32 v[50:51], 0
	v_cmp_gt_i32_e64 s0, s1, v0
                                        ; implicit-def: $vgpr64_vgpr65
	s_and_saveexec_b32 s1, s0
	s_cbranch_execz .LBB4_18
; %bb.17:
	flat_load_b64 v[50:51], v[52:53] offset:56
	s_wait_loadcnt_dscnt 0x0
	flat_load_b64 v[64:65], v[50:51] scope:SCOPE_SYS
	s_wait_loadcnt 0x0
	flat_load_b128 v[12:15], v[52:53] offset:96
.LBB4_18:
	s_wait_xcnt 0x0
	s_or_b32 exec_lo, exec_lo, s1
	v_mov_b64_e32 v[52:53], 0
	s_wait_loadcnt 0x0
	v_and_b32_e32 v30, 0xffff, v21
	s_mov_b32 s12, exec_lo
	v_cmpx_ne_u64_e32 0, v[6:7]
	s_cbranch_execnz .LBB4_34
; %bb.19:
	s_or_b32 exec_lo, exec_lo, s12
	s_and_saveexec_b32 s1, s9
	s_cbranch_execnz .LBB4_720
.LBB4_20:
	s_or_b32 exec_lo, exec_lo, s1
	s_and_saveexec_b32 s1, s0
	s_cbranch_execz .LBB4_22
.LBB4_21:
	s_wait_dscnt 0x0
	flat_store_b64 v[26:27], v[14:15] offset:104
.LBB4_22:
	s_wait_xcnt 0x0
	s_or_b32 exec_lo, exec_lo, s1
	s_delay_alu instid0(SALU_CYCLE_1)
	s_mov_b32 s0, exec_lo
	v_cmpx_ne_u32_e32 32, v20
	s_cbranch_execz .LBB4_727
; %bb.23:
	s_mov_b32 s1, exec_lo
	v_cmpx_ne_u32_e64 v20, v30
	s_xor_b32 s1, exec_lo, s1
	s_cbranch_execz .LBB4_725
; %bb.24:
	v_and_b32_e32 v0, 31, v31
	s_mov_b32 s2, exec_lo
	s_delay_alu instid0(VALU_DEP_1)
	v_cmpx_eq_u32_e32 0, v0
	s_cbranch_execz .LBB4_724
; %bb.25:
	s_mov_b32 s4, exec_lo
	s_mov_b32 s3, exec_lo
	v_mbcnt_lo_u32_b32 v0, s4, 0
	global_wb scope:SCOPE_DEV
	s_wait_storecnt 0x0
	s_wait_loadcnt_dscnt 0x0
	global_inv scope:SCOPE_DEV
	v_cmpx_eq_u32_e32 0, v0
	s_cbranch_execz .LBB4_27
; %bb.26:
	s_bcnt1_i32_b32 s4, s4
	s_delay_alu instid0(SALU_CYCLE_1)
	v_dual_mov_b32 v1, 0 :: v_dual_mov_b32 v0, s4
	s_wait_loadcnt 0x0
	ds_add_u64 v0, v[0:1]
	s_trap 2
.LBB4_27:
	s_or_b32 exec_lo, exec_lo, s3
	s_trap 2
	ds_load_b64 v[2:3], v0
	s_wait_dscnt 0x0
	v_dual_mov_b32 v1, 0 :: v_dual_lshrrev_b32 v0, 5, v20
	s_mov_b32 s3, exec_lo
	s_delay_alu instid0(VALU_DEP_1) | instskip(NEXT) | instid1(VALU_DEP_1)
	v_add_nc_u64_e32 v[0:1], v[52:53], v[0:1]
	v_cmpx_lt_u64_e64 v[2:3], v[0:1]
	s_cbranch_execz .LBB4_723
; %bb.28:
	s_mov_b32 s4, 0
	s_mov_b32 s7, 0
                                        ; implicit-def: $sgpr5
                                        ; implicit-def: $sgpr6
	s_branch .LBB4_30
.LBB4_29:                               ;   in Loop: Header=BB4_30 Depth=1
	s_or_b32 exec_lo, exec_lo, s9
	s_delay_alu instid0(SALU_CYCLE_1) | instskip(NEXT) | instid1(SALU_CYCLE_1)
	s_and_b32 s8, exec_lo, s10
	s_or_b32 s4, s8, s4
	s_and_not1_b32 s5, s5, exec_lo
	s_and_b32 s8, s6, exec_lo
	s_delay_alu instid0(SALU_CYCLE_1)
	s_or_b32 s5, s5, s8
	s_and_not1_b32 exec_lo, exec_lo, s4
	s_cbranch_execz .LBB4_721
.LBB4_30:                               ; =>This Inner Loop Header: Depth=1
	s_add_co_i32 s7, s7, 1
	s_delay_alu instid0(SALU_CYCLE_1) | instskip(SKIP_1) | instid1(SALU_CYCLE_1)
	s_cmp_lg_u32 s7, 0x2710
	s_cselect_b32 s8, -1, 0
	s_and_b32 vcc_lo, exec_lo, s8
	s_cbranch_vccz .LBB4_32
; %bb.31:                               ;   in Loop: Header=BB4_30 Depth=1
	s_mov_b32 s10, -1
	s_or_b32 s6, s6, exec_lo
	s_and_saveexec_b32 s9, s8
	s_cbranch_execz .LBB4_29
	s_branch .LBB4_33
.LBB4_32:                               ;   in Loop: Header=BB4_30 Depth=1
	s_trap 2
	ds_load_b64 v[2:3], v0
	s_and_not1_b32 s8, s8, exec_lo
	s_mov_b32 s7, 0
	s_wait_loadcnt_dscnt 0x0
	flat_load_b32 v2, v[2:3] scope:SCOPE_SYS
	s_wait_loadcnt_dscnt 0x0
	global_inv scope:SCOPE_SYS
	v_cmp_eq_u32_e32 vcc_lo, 0, v2
	s_and_b32 s9, vcc_lo, exec_lo
	s_delay_alu instid0(SALU_CYCLE_1)
	s_or_b32 s8, s8, s9
	s_mov_b32 s10, -1
	s_or_b32 s6, s6, exec_lo
	s_and_saveexec_b32 s9, s8
	s_cbranch_execz .LBB4_29
.LBB4_33:                               ;   in Loop: Header=BB4_30 Depth=1
	s_sleep 1
	s_trap 2
	ds_load_b64 v[2:3], v0
	s_wait_dscnt 0x0
	s_and_not1_b32 s6, s6, exec_lo
	v_cmp_ge_u64_e32 vcc_lo, v[2:3], v[0:1]
	s_or_not1_b32 s10, vcc_lo, exec_lo
	s_branch .LBB4_29
.LBB4_34:
	v_add_nc_u64_e32 v[2:3], v[68:69], v[4:5]
	v_mov_b32_e32 v55, 0
	s_ashr_i32 s1, s2, 31
	s_ashr_i32 s11, s10, 31
	s_lshr_b32 s1, s1, 29
	v_mov_b64_e32 v[80:81], 0
	s_add_co_i32 s2, s2, s1
	v_add_nc_u64_e32 v[68:69], v[2:3], v[18:19]
	v_dual_mov_b32 v67, v55 :: v_dual_bitop2_b32 v2, 31, v31 bitop3:0x40
	v_lshlrev_b32_e32 v82, 3, v0
	v_dual_mov_b32 v87, v55 :: v_dual_lshrrev_b32 v84, 5, v20
	v_mov_b32_e32 v21, v55
	s_delay_alu instid0(VALU_DEP_4)
	v_cmp_eq_u32_e64 s5, 0, v2
	v_add_nc_u64_e32 v[2:3], v[24:25], v[10:11]
	v_ashrrev_i32_e32 v83, 31, v82
	s_ashr_i32 s4, s2, 3
	s_ashr_i32 s13, s2, 7
	s_lshl_b64 s[2:3], s[10:11], 2
	v_cmp_ne_u64_e64 s1, 0, v[50:51]
	v_add_nc_u64_e32 v[70:71], s[2:3], v[22:23]
	s_wait_dscnt 0x0
	v_cmp_ne_u64_e64 s2, 0, v[12:13]
	v_add_nc_u64_e32 v[96:97], v[10:11], v[82:83]
	v_cmp_ne_u64_e64 s6, 0, v[48:49]
	v_add_nc_u64_e32 v[8:9], v[8:9], v[82:83]
	v_add_nc_u64_e32 v[98:99], v[2:3], v[82:83]
	v_lshlrev_b64_e32 v[102:103], 4, v[20:21]
	v_mov_b64_e32 v[52:53], 0
	v_and_b32_e32 v66, 0x1fffff0, v54
	s_and_b32 s11, s4, -16
	v_cmp_ne_u32_e64 s3, 32, v20
	v_cmp_ne_u32_e64 s4, v20, v30
	v_dual_mov_b32 v85, v55 :: v_dual_lshlrev_b32 v86, 3, v20
	v_lshlrev_b32_e32 v56, 6, v20
	v_lshl_add_u64 v[100:101], v[0:1], 4, v[36:37]
	v_dual_mov_b32 v1, 1 :: v_dual_mov_b32 v21, 0
	s_cmp_gt_i32 s10, 2
	s_mov_b32 s14, 0
	s_cselect_b32 s15, -1, 0
	s_branch .LBB4_36
.LBB4_35:                               ;   in Loop: Header=BB4_36 Depth=1
	s_wait_xcnt 0x0
	s_or_b32 exec_lo, exec_lo, s7
	v_add_nc_u64_e32 v[80:81], v[80:81], v[66:67]
	v_add_nc_u64_e32 v[34:35], 1, v[34:35]
	;; [unrolled: 1-line block ×3, first 2 shown]
	s_delay_alu instid0(VALU_DEP_3) | instskip(SKIP_1) | instid1(SALU_CYCLE_1)
	v_cmp_ge_u64_e32 vcc_lo, v[80:81], v[6:7]
	s_or_b32 s14, vcc_lo, s14
	s_and_not1_b32 exec_lo, exec_lo, s14
	s_cbranch_execz .LBB4_719
.LBB4_36:                               ; =>This Loop Header: Depth=1
                                        ;     Child Loop BB4_41 Depth 2
                                        ;     Child Loop BB4_60 Depth 2
	;; [unrolled: 1-line block ×5, first 2 shown]
                                        ;       Child Loop BB4_90 Depth 3
                                        ;       Child Loop BB4_109 Depth 3
	;; [unrolled: 1-line block ×3, first 2 shown]
                                        ;         Child Loop BB4_137 Depth 4
                                        ;       Child Loop BB4_401 Depth 3
                                        ;       Child Loop BB4_126 Depth 3
                                        ;     Child Loop BB4_417 Depth 2
                                        ;       Child Loop BB4_425 Depth 3
                                        ;     Child Loop BB4_707 Depth 2
	s_wait_loadcnt_dscnt 0x0
	flat_load_b32 v19, v[70:71] offset:-4
	v_sub_nc_u64_e32 v[2:3], v[6:7], v[80:81]
	s_delay_alu instid0(VALU_DEP_1) | instskip(NEXT) | instid1(VALU_DEP_1)
	v_min_u64 v[2:3], v[66:67], v[2:3]
	v_lshl_add_u32 v3, v2, 1, 14
	s_delay_alu instid0(VALU_DEP_1)
	v_and_b32_e32 v58, 0x7fffff0, v3
	s_wait_xcnt 0x0
	s_and_saveexec_b32 s8, s1
	s_cbranch_execz .LBB4_52
; %bb.37:                               ;   in Loop: Header=BB4_36 Depth=1
	v_add_nc_u64_e32 v[4:5], 1, v[14:15]
	v_add_nc_u64_e32 v[112:113], 8, v[64:65]
	s_mov_b32 s16, exec_lo
	s_delay_alu instid0(VALU_DEP_1)
	v_cmpx_lt_u64_e64 v[112:113], v[4:5]
	s_cbranch_execz .LBB4_49
; %bb.38:                               ;   in Loop: Header=BB4_36 Depth=1
	s_mov_b32 s17, 0
	s_mov_b32 s21, 0
	v_cmp_eq_u32_e32 vcc_lo, 0, v21
                                        ; implicit-def: $sgpr18
                                        ; implicit-def: $sgpr19
                                        ; implicit-def: $sgpr20
	s_branch .LBB4_41
.LBB4_39:                               ;   in Loop: Header=BB4_41 Depth=2
	s_or_b32 exec_lo, exec_lo, s26
	v_mov_b32_e32 v15, 0
	s_and_not1_b32 s7, s20, exec_lo
	s_and_b32 s20, s24, exec_lo
	s_and_not1_b32 s19, s19, exec_lo
	s_and_b32 s23, s23, exec_lo
	s_or_b32 s20, s7, s20
	s_or_b32 s19, s19, s23
.LBB4_40:                               ;   in Loop: Header=BB4_41 Depth=2
	s_or_b32 exec_lo, exec_lo, s22
	s_delay_alu instid0(SALU_CYCLE_1) | instskip(NEXT) | instid1(SALU_CYCLE_1)
	s_and_b32 s7, exec_lo, s19
	s_or_b32 s17, s7, s17
	s_and_not1_b32 s7, s18, exec_lo
	s_and_b32 s18, s20, exec_lo
	s_delay_alu instid0(SALU_CYCLE_1)
	s_or_b32 s18, s7, s18
	s_and_not1_b32 exec_lo, exec_lo, s17
	s_cbranch_execz .LBB4_46
.LBB4_41:                               ;   Parent Loop BB4_36 Depth=1
                                        ; =>  This Inner Loop Header: Depth=2
	s_sleep 1
	s_wait_loadcnt_dscnt 0x0
	flat_load_b64 v[64:65], v[50:51] scope:SCOPE_DEV
	v_mov_b32_e32 v15, v21
	s_or_b32 s20, s20, exec_lo
	s_or_b32 s19, s19, exec_lo
                                        ; implicit-def: $vgpr3
	s_wait_xcnt 0x0
	s_and_saveexec_b32 s22, vcc_lo
	s_cbranch_execz .LBB4_40
; %bb.42:                               ;   in Loop: Header=BB4_41 Depth=2
	s_add_co_i32 s21, s21, 1
	s_mov_b32 s23, -1
	s_cmp_lg_u32 s21, 0x2710
	s_mov_b32 s24, -1
	s_cselect_b32 s25, -1, 0
	s_cmp_eq_u32 s21, 0x2710
                                        ; implicit-def: $vgpr3
	s_cbranch_scc1 .LBB4_44
; %bb.43:                               ;   in Loop: Header=BB4_41 Depth=2
	s_and_saveexec_b32 s26, s25
	s_cbranch_execz .LBB4_39
	s_branch .LBB4_45
.LBB4_44:                               ;   in Loop: Header=BB4_41 Depth=2
	s_trap 2
	ds_load_b64 v[112:113], v0
	s_and_not1_b32 s21, s25, exec_lo
	s_mov_b32 s24, 0
	s_wait_storecnt 0x0
	s_wait_loadcnt_dscnt 0x0
	flat_load_b32 v3, v[112:113] scope:SCOPE_SYS
	s_wait_loadcnt_dscnt 0x0
	global_inv scope:SCOPE_SYS
	v_cmp_eq_u32_e64 s7, 0, v3
	s_and_b32 s7, s7, exec_lo
	s_delay_alu instid0(SALU_CYCLE_1)
	s_or_b32 s25, s21, s7
	s_mov_b32 s21, 0
	s_and_saveexec_b32 s26, s25
	s_cbranch_execz .LBB4_39
.LBB4_45:                               ;   in Loop: Header=BB4_41 Depth=2
	s_wait_loadcnt_dscnt 0x0
	v_add_nc_u64_e32 v[112:113], 8, v[64:65]
	s_or_b32 s24, s24, exec_lo
	s_delay_alu instid0(VALU_DEP_1)
	v_cmp_ge_u64_e64 s7, v[112:113], v[4:5]
	s_or_not1_b32 s23, s7, exec_lo
	s_branch .LBB4_39
.LBB4_46:                               ;   in Loop: Header=BB4_36 Depth=1
	s_or_b32 exec_lo, exec_lo, s17
	s_xor_b32 s7, s18, -1
	s_delay_alu instid0(SALU_CYCLE_1) | instskip(NEXT) | instid1(SALU_CYCLE_1)
	s_and_saveexec_b32 s17, s7
	s_xor_b32 s7, exec_lo, s17
	s_cbranch_execz .LBB4_48
; %bb.47:                               ;   in Loop: Header=BB4_36 Depth=1
	v_mov_b32_e32 v15, 1
	s_wait_storecnt 0x0
	s_wait_loadcnt_dscnt 0x0
	ds_store_b32 v0, v3
	s_trap 2
.LBB4_48:                               ;   in Loop: Header=BB4_36 Depth=1
	s_or_b32 exec_lo, exec_lo, s7
	v_mov_b32_e32 v21, v15
.LBB4_49:                               ;   in Loop: Header=BB4_36 Depth=1
	s_or_b32 exec_lo, exec_lo, s16
	s_and_saveexec_b32 s7, s2
	s_cbranch_execz .LBB4_51
; %bb.50:                               ;   in Loop: Header=BB4_36 Depth=1
	v_and_b32_e32 v54, 0x7ffffff8, v14
	s_delay_alu instid0(VALU_DEP_1) | instskip(SKIP_1) | instid1(VALU_DEP_1)
	v_cmp_eq_u64_e32 vcc_lo, 0x7ffffff8, v[54:55]
	v_cndmask_b32_e64 v112, v58, s11, vcc_lo
	v_dual_ashrrev_i32 v113, 31, v112 :: v_dual_bitop2_b32 v3, 7, v14 bitop3:0x40
	s_delay_alu instid0(VALU_DEP_1)
	v_mad_nc_u64_u32 v[14:15], v3, 24, v[12:13]
	flat_store_b64 v[14:15], v[112:113] offset:8 scope:SCOPE_SYS
	s_wait_storecnt 0x0
.LBB4_51:                               ;   in Loop: Header=BB4_36 Depth=1
	s_wait_xcnt 0x0
	s_or_b32 exec_lo, exec_lo, s7
	v_mov_b64_e32 v[14:15], v[4:5]
.LBB4_52:                               ;   in Loop: Header=BB4_36 Depth=1
	s_or_b32 exec_lo, exec_lo, s8
	s_and_saveexec_b32 s7, s3
	s_cbranch_execz .LBB4_71
; %bb.53:                               ;   in Loop: Header=BB4_36 Depth=1
	s_and_saveexec_b32 s8, s4
	s_delay_alu instid0(SALU_CYCLE_1)
	s_xor_b32 s8, exec_lo, s8
	s_cbranch_execz .LBB4_68
; %bb.54:                               ;   in Loop: Header=BB4_36 Depth=1
	s_and_saveexec_b32 s16, s5
	s_cbranch_execz .LBB4_67
; %bb.55:                               ;   in Loop: Header=BB4_36 Depth=1
	s_mov_b32 s18, exec_lo
	s_mov_b32 s17, exec_lo
	v_mbcnt_lo_u32_b32 v3, s18, 0
	global_wb scope:SCOPE_DEV
	s_wait_storecnt 0x0
	s_wait_loadcnt_dscnt 0x0
	global_inv scope:SCOPE_DEV
	v_cmpx_eq_u32_e32 0, v3
	s_cbranch_execz .LBB4_57
; %bb.56:                               ;   in Loop: Header=BB4_36 Depth=1
	s_bcnt1_i32_b32 s18, s18
	s_delay_alu instid0(SALU_CYCLE_1)
	v_mov_b32_e32 v54, s18
	s_wait_loadcnt 0x0
	ds_add_u64 v0, v[54:55]
	s_trap 2
.LBB4_57:                               ;   in Loop: Header=BB4_36 Depth=1
	s_or_b32 exec_lo, exec_lo, s17
	s_trap 2
	ds_load_b64 v[4:5], v0
	s_wait_dscnt 0x0
	v_add_nc_u64_e32 v[52:53], v[52:53], v[84:85]
	s_mov_b32 s17, exec_lo
	s_delay_alu instid0(VALU_DEP_1)
	v_cmpx_lt_u64_e64 v[4:5], v[52:53]
	s_cbranch_execz .LBB4_66
; %bb.58:                               ;   in Loop: Header=BB4_36 Depth=1
	s_mov_b32 s18, 0
	s_mov_b32 s21, 0
                                        ; implicit-def: $sgpr19
                                        ; implicit-def: $sgpr20
	s_branch .LBB4_60
.LBB4_59:                               ;   in Loop: Header=BB4_60 Depth=2
	s_or_b32 exec_lo, exec_lo, s23
	s_delay_alu instid0(SALU_CYCLE_1) | instskip(NEXT) | instid1(SALU_CYCLE_1)
	s_and_b32 s22, exec_lo, s24
	s_or_b32 s18, s22, s18
	s_and_not1_b32 s19, s19, exec_lo
	s_and_b32 s22, s20, exec_lo
	s_delay_alu instid0(SALU_CYCLE_1)
	s_or_b32 s19, s19, s22
	s_and_not1_b32 exec_lo, exec_lo, s18
	s_cbranch_execz .LBB4_64
.LBB4_60:                               ;   Parent Loop BB4_36 Depth=1
                                        ; =>  This Inner Loop Header: Depth=2
	s_add_co_i32 s21, s21, 1
	s_delay_alu instid0(SALU_CYCLE_1) | instskip(SKIP_1) | instid1(SALU_CYCLE_1)
	s_cmp_lg_u32 s21, 0x2710
	s_cselect_b32 s22, -1, 0
	s_and_b32 vcc_lo, exec_lo, s22
	s_cbranch_vccz .LBB4_62
; %bb.61:                               ;   in Loop: Header=BB4_60 Depth=2
	s_mov_b32 s24, -1
	s_or_b32 s20, s20, exec_lo
	s_and_saveexec_b32 s23, s22
	s_cbranch_execz .LBB4_59
	s_branch .LBB4_63
.LBB4_62:                               ;   in Loop: Header=BB4_60 Depth=2
	s_trap 2
	ds_load_b64 v[4:5], v0
	s_and_not1_b32 s22, s22, exec_lo
	s_mov_b32 s21, 0
	s_wait_loadcnt_dscnt 0x0
	flat_load_b32 v3, v[4:5] scope:SCOPE_SYS
	s_wait_loadcnt_dscnt 0x0
	global_inv scope:SCOPE_SYS
	v_cmp_eq_u32_e32 vcc_lo, 0, v3
	s_and_b32 s23, vcc_lo, exec_lo
	s_delay_alu instid0(SALU_CYCLE_1)
	s_or_b32 s22, s22, s23
	s_mov_b32 s24, -1
	s_or_b32 s20, s20, exec_lo
	s_and_saveexec_b32 s23, s22
	s_cbranch_execz .LBB4_59
.LBB4_63:                               ;   in Loop: Header=BB4_60 Depth=2
	s_sleep 1
	s_trap 2
	ds_load_b64 v[4:5], v0
	s_wait_dscnt 0x0
	s_and_not1_b32 s20, s20, exec_lo
	v_cmp_ge_u64_e32 vcc_lo, v[4:5], v[52:53]
	s_or_not1_b32 s24, vcc_lo, exec_lo
	s_branch .LBB4_59
.LBB4_64:                               ;   in Loop: Header=BB4_36 Depth=1
	s_or_b32 exec_lo, exec_lo, s18
	s_and_saveexec_b32 s18, s19
	s_delay_alu instid0(SALU_CYCLE_1)
	s_xor_b32 s18, exec_lo, s18
	s_cbranch_execz .LBB4_66
; %bb.65:                               ;   in Loop: Header=BB4_36 Depth=1
	ds_store_b32 v0, v1
	s_trap 2
.LBB4_66:                               ;   in Loop: Header=BB4_36 Depth=1
	s_or_b32 exec_lo, exec_lo, s17
	;;#ASMSTART
	s_wakeup
	;;#ASMEND
.LBB4_67:                               ;   in Loop: Header=BB4_36 Depth=1
	s_or_b32 exec_lo, exec_lo, s16
.LBB4_68:                               ;   in Loop: Header=BB4_36 Depth=1
	s_and_not1_saveexec_b32 s8, s8
	s_cbranch_execz .LBB4_70
; %bb.69:                               ;   in Loop: Header=BB4_36 Depth=1
	global_wb scope:SCOPE_DEV
	s_wait_storecnt 0x0
	s_wait_loadcnt_dscnt 0x0
	global_inv scope:SCOPE_DEV
	s_barrier_signal -1
	s_barrier_wait -1
.LBB4_70:                               ;   in Loop: Header=BB4_36 Depth=1
	s_or_b32 exec_lo, exec_lo, s8
.LBB4_71:                               ;   in Loop: Header=BB4_36 Depth=1
	s_delay_alu instid0(SALU_CYCLE_1) | instskip(SKIP_2) | instid1(VALU_DEP_2)
	s_or_b32 exec_lo, exec_lo, s7
	v_dual_sub_nc_u32 v57, v2, v82 :: v_dual_bitop2_b32 v116, 7, v16 bitop3:0x40
	v_dual_mov_b32 v18, v0 :: v_dual_add_nc_u32 v3, 1, v16
	v_cmp_lt_i32_e64 s7, 0, v57
	s_and_saveexec_b32 s8, s7
	s_cbranch_execz .LBB4_79
; %bb.72:                               ;   in Loop: Header=BB4_36 Depth=1
	s_wait_loadcnt_dscnt 0x0
	v_mad_nc_u64_u32 v[112:113], v68, v19, v[98:99]
	v_mul_lo_u32 v4, v116, s13
	v_mul_lo_u32 v18, v68, v19
	v_mov_b32_e32 v117, v57
	s_mov_b32 s16, 0
	s_delay_alu instid0(VALU_DEP_4) | instskip(NEXT) | instid1(VALU_DEP_4)
	v_mad_u32 v2, v69, v19, v113
	v_dual_ashrrev_i32 v19, 31, v19 :: v_dual_ashrrev_i32 v5, 31, v4
	s_delay_alu instid0(VALU_DEP_1) | instskip(NEXT) | instid1(VALU_DEP_2)
	v_lshl_add_u64 v[114:115], v[4:5], 4, v[100:101]
	v_mad_u32 v113, v68, v19, v2
	v_add_lshl_u32 v19, v98, v18, 3
	v_mov_b32_e32 v18, v0
	s_branch .LBB4_74
.LBB4_73:                               ;   in Loop: Header=BB4_74 Depth=2
	s_wait_xcnt 0x0
	s_or_b32 exec_lo, exec_lo, s17
	s_wait_loadcnt 0x0
	v_alignbit_b32 v2, v119, v2, v19
	v_alignbit_b32 v4, v118, v119, v19
	v_dual_mov_b32 v5, v3 :: v_dual_sub_nc_u32 v117, v117, v86
	v_add_nc_u64_e32 v[112:113], v[112:113], v[86:87]
	v_add_nc_u32_e32 v18, v18, v20
	v_add_nc_u32_e32 v19, v19, v56
	global_store_b128 v[114:115], v[2:5], off
	v_cmp_gt_i32_e32 vcc_lo, 1, v117
	s_wait_xcnt 0x0
	v_add_nc_u64_e32 v[114:115], v[114:115], v[102:103]
	s_or_b32 s16, vcc_lo, s16
	s_delay_alu instid0(SALU_CYCLE_1)
	s_and_not1_b32 exec_lo, exec_lo, s16
	s_cbranch_execz .LBB4_78
.LBB4_74:                               ;   Parent Loop BB4_36 Depth=1
                                        ; =>  This Inner Loop Header: Depth=2
	s_delay_alu instid0(VALU_DEP_3)
	v_dual_mov_b32 v5, v113 :: v_dual_bitop2_b32 v4, -4, v112 bitop3:0x40
	v_min_u32_e32 v54, 8, v117
	v_dual_mov_b32 v119, 0 :: v_dual_bitop2_b32 v118, 3, v112 bitop3:0x40
	s_mov_b32 s17, exec_lo
	global_load_b32 v2, v[4:5], off th:TH_LOAD_NT
	v_dual_add_nc_u32 v54, v118, v54 :: v_dual_mov_b32 v118, 0
	s_wait_xcnt 0x0
	s_delay_alu instid0(VALU_DEP_1)
	v_cmpx_lt_u32_e32 4, v54
	s_cbranch_execz .LBB4_76
; %bb.75:                               ;   in Loop: Header=BB4_74 Depth=2
	global_load_b32 v119, v[4:5], off offset:4 th:TH_LOAD_NT
.LBB4_76:                               ;   in Loop: Header=BB4_74 Depth=2
	s_wait_xcnt 0x0
	s_or_b32 exec_lo, exec_lo, s17
	s_delay_alu instid0(SALU_CYCLE_1)
	s_mov_b32 s17, exec_lo
	v_cmpx_lt_u64_e32 8, v[54:55]
	s_cbranch_execz .LBB4_73
; %bb.77:                               ;   in Loop: Header=BB4_74 Depth=2
	global_load_b32 v118, v[4:5], off offset:8 th:TH_LOAD_NT
	s_branch .LBB4_73
.LBB4_78:                               ;   in Loop: Header=BB4_36 Depth=1
	s_or_b32 exec_lo, exec_lo, s16
.LBB4_79:                               ;   in Loop: Header=BB4_36 Depth=1
	s_delay_alu instid0(SALU_CYCLE_1) | instskip(SKIP_2) | instid1(VALU_DEP_2)
	s_or_b32 exec_lo, exec_lo, s8
	v_and_b32_e32 v54, 0x7ffffff8, v16
	v_cmp_gt_i32_e64 s8, s13, v18
	v_cmp_eq_u64_e32 vcc_lo, 0x7ffffff8, v[54:55]
	s_and_b32 s16, vcc_lo, s8
	s_delay_alu instid0(SALU_CYCLE_1)
	s_and_saveexec_b32 s8, s16
	s_cbranch_execz .LBB4_82
; %bb.80:                               ;   in Loop: Header=BB4_36 Depth=1
	v_mul_lo_u32 v4, v116, s13
	v_mov_b32_e32 v2, v55
	s_mov_b32 s16, 0
	s_wait_loadcnt_dscnt 0x0
	s_delay_alu instid0(VALU_DEP_2) | instskip(NEXT) | instid1(VALU_DEP_1)
	v_dual_ashrrev_i32 v19, 31, v18 :: v_dual_ashrrev_i32 v5, 31, v4
	v_lshlrev_b64_e32 v[4:5], 4, v[4:5]
	s_delay_alu instid0(VALU_DEP_1) | instskip(NEXT) | instid1(VALU_DEP_1)
	v_lshl_add_u64 v[4:5], v[18:19], 4, v[4:5]
	v_add_nc_u64_e32 v[112:113], v[36:37], v[4:5]
.LBB4_81:                               ;   Parent Loop BB4_36 Depth=1
                                        ; =>  This Inner Loop Header: Depth=2
	v_dual_mov_b32 v4, v2 :: v_dual_mov_b32 v5, v3
	v_add_nc_u32_e32 v18, v18, v20
	global_store_b128 v[112:113], v[2:5], off
	v_cmp_le_i32_e32 vcc_lo, s13, v18
	s_wait_xcnt 0x0
	v_add_nc_u64_e32 v[112:113], v[112:113], v[102:103]
	s_or_b32 s16, vcc_lo, s16
	s_delay_alu instid0(SALU_CYCLE_1)
	s_and_not1_b32 exec_lo, exec_lo, s16
	s_cbranch_execnz .LBB4_81
.LBB4_82:                               ;   in Loop: Header=BB4_36 Depth=1
	s_or_b32 exec_lo, exec_lo, s8
	v_add_nc_u64_e32 v[112:113], v[80:81], v[24:25]
	v_add_nc_u64_e32 v[114:115], 1, v[16:17]
	s_and_not1_b32 vcc_lo, exec_lo, s15
	s_cbranch_vccnz .LBB4_412
; %bb.83:                               ;   in Loop: Header=BB4_36 Depth=1
	s_delay_alu instid0(VALU_DEP_2)
	v_add_nc_u64_e32 v[116:117], v[96:97], v[112:113]
	v_add_nc_u16 v59, v16, 1
	s_mov_b32 s16, 2
	s_branch .LBB4_85
.LBB4_84:                               ;   in Loop: Header=BB4_85 Depth=2
	s_or_b32 exec_lo, exec_lo, s8
	v_add_nc_u64_e32 v[34:35], 1, v[34:35]
	v_add_nc_u64_e32 v[114:115], 1, v[114:115]
	v_add_nc_u16 v59, v59, 1
	s_add_co_i32 s16, s16, 1
	s_delay_alu instid0(SALU_CYCLE_1)
	s_cmp_eq_u32 s16, s10
	s_cbranch_scc1 .LBB4_412
.LBB4_85:                               ;   Parent Loop BB4_36 Depth=1
                                        ; =>  This Loop Header: Depth=2
                                        ;       Child Loop BB4_90 Depth 3
                                        ;       Child Loop BB4_109 Depth 3
                                        ;       Child Loop BB4_129 Depth 3
                                        ;         Child Loop BB4_137 Depth 4
                                        ;       Child Loop BB4_401 Depth 3
                                        ;       Child Loop BB4_126 Depth 3
	s_sub_co_i32 s8, s10, s16
	v_readfirstlane_b32 s18, v22
	v_mov_b32_e32 v2, s8
	v_readfirstlane_b32 s19, v23
	s_wait_loadcnt_dscnt 0x0
	flat_load_b32 v4, v2, s[18:19] scale_offset
	s_wait_xcnt 0x0
	s_and_saveexec_b32 s17, s1
	s_cbranch_execz .LBB4_101
; %bb.86:                               ;   in Loop: Header=BB4_85 Depth=2
	v_add_nc_u64_e32 v[2:3], 1, v[14:15]
	s_wait_loadcnt_dscnt 0x101
	v_add_nc_u64_e32 v[16:17], 8, v[64:65]
	s_mov_b32 s18, exec_lo
	s_delay_alu instid0(VALU_DEP_1)
	v_cmpx_lt_u64_e64 v[16:17], v[2:3]
	s_cbranch_execz .LBB4_98
; %bb.87:                               ;   in Loop: Header=BB4_85 Depth=2
	s_mov_b32 s19, 0
	s_mov_b32 s23, 0
	v_cmp_eq_u32_e32 vcc_lo, 0, v21
                                        ; implicit-def: $sgpr20
                                        ; implicit-def: $sgpr21
                                        ; implicit-def: $sgpr22
	s_branch .LBB4_90
.LBB4_88:                               ;   in Loop: Header=BB4_90 Depth=3
	s_or_b32 exec_lo, exec_lo, s28
	v_mov_b32_e32 v15, 0
	s_and_not1_b32 s8, s22, exec_lo
	s_and_b32 s22, s26, exec_lo
	s_and_not1_b32 s21, s21, exec_lo
	s_and_b32 s25, s25, exec_lo
	s_or_b32 s22, s8, s22
	s_or_b32 s21, s21, s25
.LBB4_89:                               ;   in Loop: Header=BB4_90 Depth=3
	s_or_b32 exec_lo, exec_lo, s24
	s_delay_alu instid0(SALU_CYCLE_1) | instskip(NEXT) | instid1(SALU_CYCLE_1)
	s_and_b32 s8, exec_lo, s21
	s_or_b32 s19, s8, s19
	s_and_not1_b32 s8, s20, exec_lo
	s_and_b32 s20, s22, exec_lo
	s_delay_alu instid0(SALU_CYCLE_1)
	s_or_b32 s20, s8, s20
	s_and_not1_b32 exec_lo, exec_lo, s19
	s_cbranch_execz .LBB4_95
.LBB4_90:                               ;   Parent Loop BB4_36 Depth=1
                                        ;     Parent Loop BB4_85 Depth=2
                                        ; =>    This Inner Loop Header: Depth=3
	s_sleep 1
	s_wait_loadcnt_dscnt 0x0
	flat_load_b64 v[64:65], v[50:51] scope:SCOPE_DEV
	v_mov_b32_e32 v15, v21
	s_or_b32 s22, s22, exec_lo
	s_or_b32 s21, s21, exec_lo
                                        ; implicit-def: $vgpr5
	s_wait_xcnt 0x0
	s_and_saveexec_b32 s24, vcc_lo
	s_cbranch_execz .LBB4_89
; %bb.91:                               ;   in Loop: Header=BB4_90 Depth=3
	s_add_co_i32 s23, s23, 1
	s_mov_b32 s25, -1
	s_cmp_lg_u32 s23, 0x2710
	s_mov_b32 s26, -1
	s_cselect_b32 s27, -1, 0
	s_cmp_eq_u32 s23, 0x2710
                                        ; implicit-def: $vgpr5
	s_cbranch_scc1 .LBB4_93
; %bb.92:                               ;   in Loop: Header=BB4_90 Depth=3
	s_and_saveexec_b32 s28, s27
	s_cbranch_execz .LBB4_88
	s_branch .LBB4_94
.LBB4_93:                               ;   in Loop: Header=BB4_90 Depth=3
	s_trap 2
	ds_load_b64 v[16:17], v0
	s_and_not1_b32 s23, s27, exec_lo
	s_mov_b32 s26, 0
	s_wait_storecnt 0x0
	s_wait_loadcnt_dscnt 0x0
	flat_load_b32 v5, v[16:17] scope:SCOPE_SYS
	s_wait_loadcnt_dscnt 0x0
	global_inv scope:SCOPE_SYS
	v_cmp_eq_u32_e64 s8, 0, v5
	s_and_b32 s8, s8, exec_lo
	s_delay_alu instid0(SALU_CYCLE_1)
	s_or_b32 s27, s23, s8
	s_mov_b32 s23, 0
	s_and_saveexec_b32 s28, s27
	s_cbranch_execz .LBB4_88
.LBB4_94:                               ;   in Loop: Header=BB4_90 Depth=3
	s_wait_loadcnt_dscnt 0x0
	v_add_nc_u64_e32 v[16:17], 8, v[64:65]
	s_or_b32 s26, s26, exec_lo
	s_delay_alu instid0(VALU_DEP_1)
	v_cmp_ge_u64_e64 s8, v[16:17], v[2:3]
	s_or_not1_b32 s25, s8, exec_lo
	s_branch .LBB4_88
.LBB4_95:                               ;   in Loop: Header=BB4_85 Depth=2
	s_or_b32 exec_lo, exec_lo, s19
	s_xor_b32 s8, s20, -1
	s_delay_alu instid0(SALU_CYCLE_1) | instskip(NEXT) | instid1(SALU_CYCLE_1)
	s_and_saveexec_b32 s19, s8
	s_xor_b32 s8, exec_lo, s19
	s_cbranch_execz .LBB4_97
; %bb.96:                               ;   in Loop: Header=BB4_85 Depth=2
	v_mov_b32_e32 v15, 1
	s_wait_storecnt 0x0
	s_wait_loadcnt_dscnt 0x0
	ds_store_b32 v0, v5
	s_trap 2
.LBB4_97:                               ;   in Loop: Header=BB4_85 Depth=2
	s_or_b32 exec_lo, exec_lo, s8
	v_mov_b32_e32 v21, v15
.LBB4_98:                               ;   in Loop: Header=BB4_85 Depth=2
	s_or_b32 exec_lo, exec_lo, s18
	s_and_saveexec_b32 s8, s2
	s_cbranch_execz .LBB4_100
; %bb.99:                               ;   in Loop: Header=BB4_85 Depth=2
	v_and_b32_e32 v54, 0x7ffffff8, v14
	s_delay_alu instid0(VALU_DEP_1) | instskip(SKIP_1) | instid1(VALU_DEP_1)
	v_cmp_eq_u64_e32 vcc_lo, 0x7ffffff8, v[54:55]
	v_cndmask_b32_e64 v16, v58, s11, vcc_lo
	v_dual_ashrrev_i32 v17, 31, v16 :: v_dual_bitop2_b32 v5, 7, v14 bitop3:0x40
	s_delay_alu instid0(VALU_DEP_1)
	v_mad_nc_u64_u32 v[14:15], v5, 24, v[12:13]
	flat_store_b64 v[14:15], v[16:17] offset:8 scope:SCOPE_SYS
	s_wait_storecnt 0x0
.LBB4_100:                              ;   in Loop: Header=BB4_85 Depth=2
	s_wait_xcnt 0x0
	s_or_b32 exec_lo, exec_lo, s8
	v_mov_b64_e32 v[14:15], v[2:3]
.LBB4_101:                              ;   in Loop: Header=BB4_85 Depth=2
	s_or_b32 exec_lo, exec_lo, s17
	s_and_saveexec_b32 s8, s3
	s_cbranch_execz .LBB4_120
; %bb.102:                              ;   in Loop: Header=BB4_85 Depth=2
	s_and_saveexec_b32 s17, s4
	s_delay_alu instid0(SALU_CYCLE_1)
	s_xor_b32 s17, exec_lo, s17
	s_cbranch_execz .LBB4_117
; %bb.103:                              ;   in Loop: Header=BB4_85 Depth=2
	s_and_saveexec_b32 s18, s5
	s_cbranch_execz .LBB4_116
; %bb.104:                              ;   in Loop: Header=BB4_85 Depth=2
	s_mov_b32 s20, exec_lo
	s_mov_b32 s19, exec_lo
	v_mbcnt_lo_u32_b32 v2, s20, 0
	global_wb scope:SCOPE_DEV
	s_wait_storecnt 0x0
	s_wait_loadcnt_dscnt 0x0
	global_inv scope:SCOPE_DEV
	v_cmpx_eq_u32_e32 0, v2
	s_cbranch_execz .LBB4_106
; %bb.105:                              ;   in Loop: Header=BB4_85 Depth=2
	s_bcnt1_i32_b32 s20, s20
	s_delay_alu instid0(SALU_CYCLE_1)
	v_mov_b32_e32 v54, s20
	s_wait_loadcnt 0x0
	ds_add_u64 v0, v[54:55]
	s_trap 2
.LBB4_106:                              ;   in Loop: Header=BB4_85 Depth=2
	s_or_b32 exec_lo, exec_lo, s19
	s_trap 2
	ds_load_b64 v[2:3], v0
	s_wait_dscnt 0x0
	v_add_nc_u64_e32 v[52:53], v[52:53], v[84:85]
	s_mov_b32 s19, exec_lo
	s_delay_alu instid0(VALU_DEP_1)
	v_cmpx_lt_u64_e64 v[2:3], v[52:53]
	s_cbranch_execz .LBB4_115
; %bb.107:                              ;   in Loop: Header=BB4_85 Depth=2
	s_mov_b32 s20, 0
	s_mov_b32 s23, 0
                                        ; implicit-def: $sgpr21
                                        ; implicit-def: $sgpr22
	s_branch .LBB4_109
.LBB4_108:                              ;   in Loop: Header=BB4_109 Depth=3
	s_or_b32 exec_lo, exec_lo, s25
	s_delay_alu instid0(SALU_CYCLE_1) | instskip(NEXT) | instid1(SALU_CYCLE_1)
	s_and_b32 s24, exec_lo, s26
	s_or_b32 s20, s24, s20
	s_and_not1_b32 s21, s21, exec_lo
	s_and_b32 s24, s22, exec_lo
	s_delay_alu instid0(SALU_CYCLE_1)
	s_or_b32 s21, s21, s24
	s_and_not1_b32 exec_lo, exec_lo, s20
	s_cbranch_execz .LBB4_113
.LBB4_109:                              ;   Parent Loop BB4_36 Depth=1
                                        ;     Parent Loop BB4_85 Depth=2
                                        ; =>    This Inner Loop Header: Depth=3
	s_add_co_i32 s23, s23, 1
	s_delay_alu instid0(SALU_CYCLE_1) | instskip(SKIP_1) | instid1(SALU_CYCLE_1)
	s_cmp_lg_u32 s23, 0x2710
	s_cselect_b32 s24, -1, 0
	s_and_b32 vcc_lo, exec_lo, s24
	s_cbranch_vccz .LBB4_111
; %bb.110:                              ;   in Loop: Header=BB4_109 Depth=3
	s_mov_b32 s26, -1
	s_or_b32 s22, s22, exec_lo
	s_and_saveexec_b32 s25, s24
	s_cbranch_execz .LBB4_108
	s_branch .LBB4_112
.LBB4_111:                              ;   in Loop: Header=BB4_109 Depth=3
	s_trap 2
	ds_load_b64 v[2:3], v0
	s_and_not1_b32 s24, s24, exec_lo
	s_mov_b32 s23, 0
	s_wait_loadcnt_dscnt 0x0
	flat_load_b32 v2, v[2:3] scope:SCOPE_SYS
	s_wait_loadcnt_dscnt 0x0
	global_inv scope:SCOPE_SYS
	v_cmp_eq_u32_e32 vcc_lo, 0, v2
	s_and_b32 s25, vcc_lo, exec_lo
	s_delay_alu instid0(SALU_CYCLE_1)
	s_or_b32 s24, s24, s25
	s_mov_b32 s26, -1
	s_or_b32 s22, s22, exec_lo
	s_and_saveexec_b32 s25, s24
	s_cbranch_execz .LBB4_108
.LBB4_112:                              ;   in Loop: Header=BB4_109 Depth=3
	s_sleep 1
	s_trap 2
	ds_load_b64 v[2:3], v0
	s_wait_dscnt 0x0
	s_and_not1_b32 s22, s22, exec_lo
	v_cmp_ge_u64_e32 vcc_lo, v[2:3], v[52:53]
	s_or_not1_b32 s26, vcc_lo, exec_lo
	s_branch .LBB4_108
.LBB4_113:                              ;   in Loop: Header=BB4_85 Depth=2
	s_or_b32 exec_lo, exec_lo, s20
	s_and_saveexec_b32 s20, s21
	s_delay_alu instid0(SALU_CYCLE_1)
	s_xor_b32 s20, exec_lo, s20
	s_cbranch_execz .LBB4_115
; %bb.114:                              ;   in Loop: Header=BB4_85 Depth=2
	ds_store_b32 v0, v1
	s_trap 2
.LBB4_115:                              ;   in Loop: Header=BB4_85 Depth=2
	s_or_b32 exec_lo, exec_lo, s19
	;;#ASMSTART
	s_wakeup
	;;#ASMEND
.LBB4_116:                              ;   in Loop: Header=BB4_85 Depth=2
	s_or_b32 exec_lo, exec_lo, s18
.LBB4_117:                              ;   in Loop: Header=BB4_85 Depth=2
	s_and_not1_saveexec_b32 s17, s17
	s_cbranch_execz .LBB4_119
; %bb.118:                              ;   in Loop: Header=BB4_85 Depth=2
	global_wb scope:SCOPE_DEV
	s_wait_storecnt 0x0
	s_wait_loadcnt_dscnt 0x0
	global_inv scope:SCOPE_DEV
	s_barrier_signal -1
	s_barrier_wait -1
.LBB4_119:                              ;   in Loop: Header=BB4_85 Depth=2
	s_or_b32 exec_lo, exec_lo, s17
.LBB4_120:                              ;   in Loop: Header=BB4_85 Depth=2
	s_delay_alu instid0(SALU_CYCLE_1)
	s_or_b32 exec_lo, exec_lo, s8
	v_dual_mov_b32 v118, v0 :: v_dual_add_nc_u32 v3, 1, v114
	s_and_saveexec_b32 s17, s7
	s_cbranch_execnz .LBB4_127
; %bb.121:                              ;   in Loop: Header=BB4_85 Depth=2
	s_or_b32 exec_lo, exec_lo, s17
	s_and_saveexec_b32 s8, s3
	s_cbranch_execnz .LBB4_394
.LBB4_122:                              ;   in Loop: Header=BB4_85 Depth=2
	s_or_b32 exec_lo, exec_lo, s8
	s_and_saveexec_b32 s8, s6
	s_cbranch_execz .LBB4_124
.LBB4_123:                              ;   in Loop: Header=BB4_85 Depth=2
	v_add_nc_u64_e32 v[38:39], 1, v[38:39]
	global_wb scope:SCOPE_SYS
	s_wait_storecnt 0x0
	s_wait_loadcnt_dscnt 0x0
	flat_store_b64 v[48:49], v[38:39] scope:SCOPE_SYS
.LBB4_124:                              ;   in Loop: Header=BB4_85 Depth=2
	s_wait_xcnt 0x0
	s_or_b32 exec_lo, exec_lo, s8
	v_and_b32_e32 v54, 0x7ffffff8, v114
	v_cmp_gt_i32_e64 s8, s13, v118
	s_delay_alu instid0(VALU_DEP_2) | instskip(SKIP_1) | instid1(SALU_CYCLE_1)
	v_cmp_eq_u64_e32 vcc_lo, 0x7ffffff8, v[54:55]
	s_and_b32 s17, vcc_lo, s8
	s_and_saveexec_b32 s8, s17
	s_cbranch_execz .LBB4_84
; %bb.125:                              ;   in Loop: Header=BB4_85 Depth=2
	v_dual_ashrrev_i32 v119, 31, v118 :: v_dual_bitop2_b32 v2, 7, v59 bitop3:0x40
	s_mov_b32 s17, 0
	s_wait_loadcnt_dscnt 0x0
	s_delay_alu instid0(VALU_DEP_1) | instskip(NEXT) | instid1(VALU_DEP_1)
	v_mul_lo_u32 v4, s13, v2
	v_dual_mov_b32 v2, v55 :: v_dual_ashrrev_i32 v5, 31, v4
	s_delay_alu instid0(VALU_DEP_1) | instskip(NEXT) | instid1(VALU_DEP_1)
	v_lshlrev_b64_e32 v[4:5], 4, v[4:5]
	v_lshl_add_u64 v[4:5], v[118:119], 4, v[4:5]
	s_delay_alu instid0(VALU_DEP_1)
	v_add_nc_u64_e32 v[16:17], v[36:37], v[4:5]
.LBB4_126:                              ;   Parent Loop BB4_36 Depth=1
                                        ;     Parent Loop BB4_85 Depth=2
                                        ; =>    This Inner Loop Header: Depth=3
	s_delay_alu instid0(VALU_DEP_4)
	v_dual_mov_b32 v4, v2 :: v_dual_mov_b32 v5, v3
	v_add_nc_u32_e32 v118, v118, v20
	global_store_b128 v[16:17], v[2:5], off
	v_cmp_le_i32_e32 vcc_lo, s13, v118
	s_wait_xcnt 0x0
	v_add_nc_u64_e32 v[16:17], v[16:17], v[102:103]
	s_or_b32 s17, vcc_lo, s17
	s_delay_alu instid0(SALU_CYCLE_1)
	s_and_not1_b32 exec_lo, exec_lo, s17
	s_cbranch_execnz .LBB4_126
	s_branch .LBB4_84
.LBB4_127:                              ;   in Loop: Header=BB4_85 Depth=2
	v_and_b32_e32 v2, 7, v34
	s_wait_loadcnt_dscnt 0x0
	v_mad_nc_u64_u32 v[40:41], v68, v4, v[116:117]
	v_dual_add_nc_u32 v60, 1, v34 :: v_dual_mov_b32 v118, v0
	s_mov_b32 s18, 0
	v_mul_lo_u32 v16, v2, s13
	v_dual_mov_b32 v61, v57 :: v_dual_bitop2_b32 v5, 7, v114 bitop3:0x40
	s_delay_alu instid0(VALU_DEP_4) | instskip(SKIP_1) | instid1(VALU_DEP_4)
	v_mad_u32 v2, v69, v4, v41
	v_ashrrev_i32_e32 v4, 31, v4
	v_ashrrev_i32_e32 v17, 31, v16
	s_delay_alu instid0(VALU_DEP_4) | instskip(NEXT) | instid1(VALU_DEP_2)
	v_mul_lo_u32 v18, v5, s13
	v_lshl_add_u64 v[42:43], v[16:17], 4, v[32:33]
	s_delay_alu instid0(VALU_DEP_4) | instskip(NEXT) | instid1(VALU_DEP_3)
	v_mad_u32 v41, v68, v4, v2
	v_ashrrev_i32_e32 v19, 31, v18
	s_delay_alu instid0(VALU_DEP_1)
	v_lshl_add_u64 v[44:45], v[18:19], 4, v[36:37]
	s_branch .LBB4_129
.LBB4_128:                              ;   in Loop: Header=BB4_129 Depth=3
	s_or_b32 exec_lo, exec_lo, s8
	v_dual_lshlrev_b32 v5, 8, v62 :: v_dual_lshlrev_b32 v17, 8, v63
	v_dual_lshlrev_b32 v16, 16, v46 :: v_dual_lshlrev_b32 v18, 16, v72
	;; [unrolled: 1-line block ×3, first 2 shown]
	v_sub_nc_u32_e32 v61, v61, v86
	s_delay_alu instid0(VALU_DEP_3) | instskip(NEXT) | instid1(VALU_DEP_4)
	v_or3_b32 v2, v5, v2, v16
	v_or3_b32 v5, v17, v19, v18
	v_add_nc_u64_e32 v[40:41], v[40:41], v[86:87]
	v_lshl_add_u64 v[16:17], v[118:119], 4, v[44:45]
	v_add_nc_u32_e32 v118, v118, v20
	v_or3_b32 v2, v2, v54, 0
	v_or3_b32 v4, v5, v4, 0
	v_mov_b32_e32 v5, v3
	v_cmp_gt_i32_e32 vcc_lo, 1, v61
	global_store_b128 v[16:17], v[2:5], off
	s_or_b32 s18, vcc_lo, s18
	s_wait_xcnt 0x0
	s_and_not1_b32 exec_lo, exec_lo, s18
	s_cbranch_execz .LBB4_393
.LBB4_129:                              ;   Parent Loop BB4_36 Depth=1
                                        ;     Parent Loop BB4_85 Depth=2
                                        ; =>    This Loop Header: Depth=3
                                        ;         Child Loop BB4_137 Depth 4
	s_delay_alu instid0(VALU_DEP_3)
	v_dual_mov_b32 v5, v41 :: v_dual_bitop2_b32 v4, -4, v40 bitop3:0x40
	v_min_u32_e32 v16, 8, v61
	v_dual_mov_b32 v63, 0 :: v_dual_bitop2_b32 v17, 3, v40 bitop3:0x40
	v_mov_b32_e32 v72, 0
	global_load_b32 v2, v[4:5], off th:TH_LOAD_NT
	s_mov_b32 s8, exec_lo
	v_add_nc_u32_e32 v54, v17, v16
	s_wait_xcnt 0x0
	s_delay_alu instid0(VALU_DEP_1)
	v_cmpx_lt_u32_e32 4, v54
	s_cbranch_execz .LBB4_131
; %bb.130:                              ;   in Loop: Header=BB4_129 Depth=3
	global_load_b32 v72, v[4:5], off offset:4 th:TH_LOAD_NT
.LBB4_131:                              ;   in Loop: Header=BB4_129 Depth=3
	s_wait_xcnt 0x0
	s_or_b32 exec_lo, exec_lo, s8
	s_delay_alu instid0(SALU_CYCLE_1)
	s_mov_b32 s8, exec_lo
	v_cmpx_lt_u64_e32 8, v[54:55]
	s_cbranch_execz .LBB4_133
; %bb.132:                              ;   in Loop: Header=BB4_129 Depth=3
	global_load_b32 v63, v[4:5], off offset:8 th:TH_LOAD_NT
.LBB4_133:                              ;   in Loop: Header=BB4_129 Depth=3
	s_wait_xcnt 0x0
	s_or_b32 exec_lo, exec_lo, s8
	v_ashrrev_i32_e32 v119, 31, v118
	s_mov_b32 s19, exec_lo
	s_delay_alu instid0(VALU_DEP_1)
	v_lshl_add_u64 v[4:5], v[118:119], 4, v[42:43]
	global_load_b128 v[16:19], v[4:5], off th:TH_LOAD_NT
	s_wait_xcnt 0x0
	v_cmpx_eq_u32_e32 0, v21
	s_cbranch_execz .LBB4_145
; %bb.134:                              ;   in Loop: Header=BB4_129 Depth=3
	s_wait_loadcnt 0x0
	v_cmp_ne_u32_e32 vcc_lo, v60, v17
	v_cmp_ne_u32_e64 s8, v60, v19
	v_mov_b32_e32 v21, 0
	s_or_b32 s8, vcc_lo, s8
	s_delay_alu instid0(SALU_CYCLE_1)
	s_and_saveexec_b32 s20, s8
	s_cbranch_execz .LBB4_144
; %bb.135:                              ;   in Loop: Header=BB4_129 Depth=3
	s_mov_b32 s24, 1
	s_mov_b32 s22, 0
                                        ; implicit-def: $sgpr21
                                        ; implicit-def: $sgpr23
	s_branch .LBB4_137
.LBB4_136:                              ;   in Loop: Header=BB4_137 Depth=4
	s_or_b32 exec_lo, exec_lo, s26
	s_delay_alu instid0(SALU_CYCLE_1) | instskip(NEXT) | instid1(SALU_CYCLE_1)
	s_and_b32 s8, exec_lo, s8
	s_or_b32 s22, s8, s22
	s_and_not1_b32 s8, s21, exec_lo
	s_and_b32 s21, s23, exec_lo
	s_delay_alu instid0(SALU_CYCLE_1)
	s_or_b32 s21, s8, s21
	s_and_not1_b32 exec_lo, exec_lo, s22
	s_cbranch_execz .LBB4_141
.LBB4_137:                              ;   Parent Loop BB4_36 Depth=1
                                        ;     Parent Loop BB4_85 Depth=2
                                        ;       Parent Loop BB4_129 Depth=3
                                        ; =>      This Inner Loop Header: Depth=4
	s_wait_loadcnt 0x0
	global_load_b128 v[16:19], v[4:5], off th:TH_LOAD_NT
	s_add_co_i32 s24, s24, 1
	s_mov_b32 s8, -1
	s_cmp_lg_u32 s24, 0x2710
	s_mov_b32 s25, -1
                                        ; implicit-def: $vgpr54
	s_cbranch_scc0 .LBB4_139
; %bb.138:                              ;   in Loop: Header=BB4_137 Depth=4
	s_or_b32 s23, s23, exec_lo
	s_wait_xcnt 0x0
	s_and_saveexec_b32 s26, s25
	s_cbranch_execz .LBB4_136
	s_branch .LBB4_140
.LBB4_139:                              ;   in Loop: Header=BB4_137 Depth=4
	s_trap 2
	ds_load_b64 v[46:47], v0
	s_mov_b32 s24, 0
	s_wait_storecnt 0x0
	s_wait_loadcnt_dscnt 0x0
	flat_load_b32 v54, v[46:47] scope:SCOPE_SYS
	s_wait_loadcnt_dscnt 0x0
	global_inv scope:SCOPE_SYS
	v_cmp_eq_u32_e32 vcc_lo, 0, v54
	s_or_not1_b32 s25, vcc_lo, exec_lo
	s_or_b32 s23, s23, exec_lo
	s_wait_xcnt 0x0
	s_and_saveexec_b32 s26, s25
	s_cbranch_execz .LBB4_136
.LBB4_140:                              ;   in Loop: Header=BB4_137 Depth=4
	s_wait_loadcnt 0x0
	v_cmp_eq_u32_e32 vcc_lo, v60, v17
	v_cmp_eq_u32_e64 s8, v60, v19
	s_and_not1_b32 s23, s23, exec_lo
	s_and_b32 s8, vcc_lo, s8
	s_delay_alu instid0(SALU_CYCLE_1)
	s_or_not1_b32 s8, s8, exec_lo
	s_branch .LBB4_136
.LBB4_141:                              ;   in Loop: Header=BB4_129 Depth=3
	s_or_b32 exec_lo, exec_lo, s22
	v_mov_b32_e32 v21, 0
	s_and_saveexec_b32 s8, s21
	s_delay_alu instid0(SALU_CYCLE_1)
	s_xor_b32 s8, exec_lo, s8
	s_cbranch_execz .LBB4_143
; %bb.142:                              ;   in Loop: Header=BB4_129 Depth=3
	v_mov_b32_e32 v21, 1
	s_wait_loadcnt 0x0
	s_wait_storecnt 0x0
	ds_store_b32 v0, v54
	s_trap 2
.LBB4_143:                              ;   in Loop: Header=BB4_129 Depth=3
	s_or_b32 exec_lo, exec_lo, s8
.LBB4_144:                              ;   in Loop: Header=BB4_129 Depth=3
	s_delay_alu instid0(SALU_CYCLE_1)
	s_or_b32 exec_lo, exec_lo, s20
.LBB4_145:                              ;   in Loop: Header=BB4_129 Depth=3
	s_delay_alu instid0(SALU_CYCLE_1) | instskip(SKIP_4) | instid1(VALU_DEP_2)
	s_or_b32 exec_lo, exec_lo, s19
	s_wait_loadcnt 0x0
	v_and_b32_e32 v54, 0xff, v16
	v_dual_mov_b32 v4, 0 :: v_dual_mov_b32 v5, 0
	s_mov_b32 s8, exec_lo
	v_cmpx_ne_u16_e32 0, v54
	s_cbranch_execz .LBB4_151
; %bb.146:                              ;   in Loop: Header=BB4_129 Depth=3
	v_bfrev_b32_e32 v5, 1
	s_mov_b32 s19, exec_lo
	v_cmpx_ne_u16_e32 0x80, v54
	s_cbranch_execz .LBB4_150
; %bb.147:                              ;   in Loop: Header=BB4_129 Depth=3
	v_and_b32_e32 v54, 0x7f, v16
	v_mov_b32_e32 v5, 0x7f800001
	s_mov_b32 s20, exec_lo
	s_delay_alu instid0(VALU_DEP_2)
	v_cmpx_ne_u32_e32 0x7f, v54
	s_cbranch_execz .LBB4_149
; %bb.148:                              ;   in Loop: Header=BB4_129 Depth=3
	v_dual_lshrrev_b32 v46, 3, v54 :: v_dual_bitop2_b32 v5, 7, v16 bitop3:0x40
	v_cmp_gt_u32_e32 vcc_lo, 8, v54
	s_delay_alu instid0(VALU_DEP_2) | instskip(NEXT) | instid1(VALU_DEP_1)
	v_clz_i32_u32_e32 v5, v5
	v_min_u32_e32 v5, 32, v5
	s_delay_alu instid0(VALU_DEP_1) | instskip(NEXT) | instid1(VALU_DEP_1)
	v_subrev_nc_u32_e32 v54, 28, v5
	v_dual_cndmask_b32 v54, 0, v54 :: v_dual_sub_nc_u32 v5, 29, v5
	s_delay_alu instid0(VALU_DEP_1) | instskip(NEXT) | instid1(VALU_DEP_2)
	v_cndmask_b32_e32 v5, v46, v5, vcc_lo
	v_lshlrev_b64_e32 v[46:47], v54, v[16:17]
	v_lshlrev_b32_e32 v54, 24, v16
	s_delay_alu instid0(VALU_DEP_1) | instskip(NEXT) | instid1(VALU_DEP_3)
	v_and_b32_e32 v54, 0x80000000, v54
	v_lshlrev_b32_e32 v17, 20, v46
	v_lshl_add_u32 v5, v5, 23, 0x3c000000
	s_delay_alu instid0(VALU_DEP_2) | instskip(NEXT) | instid1(VALU_DEP_1)
	v_and_b32_e32 v17, 0x700000, v17
	v_or3_b32 v5, v17, v54, v5
.LBB4_149:                              ;   in Loop: Header=BB4_129 Depth=3
	s_or_b32 exec_lo, exec_lo, s20
.LBB4_150:                              ;   in Loop: Header=BB4_129 Depth=3
	s_delay_alu instid0(SALU_CYCLE_1)
	s_or_b32 exec_lo, exec_lo, s19
.LBB4_151:                              ;   in Loop: Header=BB4_129 Depth=3
	s_delay_alu instid0(SALU_CYCLE_1) | instskip(SKIP_2) | instid1(VALU_DEP_1)
	s_or_b32 exec_lo, exec_lo, s8
	v_lshlrev_b32_e32 v73, 3, v40
	s_mov_b32 s8, exec_lo
	v_alignbit_b32 v54, v72, v2, v73
	s_delay_alu instid0(VALU_DEP_1) | instskip(NEXT) | instid1(VALU_DEP_1)
	v_and_b32_e32 v2, 0xff, v54
	v_cmpx_ne_u16_e32 0, v2
	s_cbranch_execz .LBB4_157
; %bb.152:                              ;   in Loop: Header=BB4_129 Depth=3
	v_bfrev_b32_e32 v4, 1
	s_mov_b32 s19, exec_lo
	v_cmpx_ne_u16_e32 0x80, v2
	s_cbranch_execz .LBB4_156
; %bb.153:                              ;   in Loop: Header=BB4_129 Depth=3
	v_and_b32_e32 v2, 0x7f, v54
	v_mov_b32_e32 v4, 0x7f800001
	s_mov_b32 s20, exec_lo
	s_delay_alu instid0(VALU_DEP_2)
	v_cmpx_ne_u32_e32 0x7f, v2
	s_cbranch_execz .LBB4_155
; %bb.154:                              ;   in Loop: Header=BB4_129 Depth=3
	v_and_b32_e32 v4, 7, v54
	v_lshrrev_b32_e32 v17, 3, v2
	v_cmp_gt_u32_e32 vcc_lo, 8, v2
	s_delay_alu instid0(VALU_DEP_3) | instskip(NEXT) | instid1(VALU_DEP_1)
	v_clz_i32_u32_e32 v2, v4
	v_min_u32_e32 v2, 32, v2
	s_delay_alu instid0(VALU_DEP_1) | instskip(NEXT) | instid1(VALU_DEP_1)
	v_subrev_nc_u32_e32 v4, 28, v2
	v_dual_sub_nc_u32 v2, 29, v2 :: v_dual_cndmask_b32 v4, 0, v4, vcc_lo
	s_delay_alu instid0(VALU_DEP_1) | instskip(SKIP_1) | instid1(VALU_DEP_3)
	v_cndmask_b32_e32 v2, v17, v2, vcc_lo
	v_lshlrev_b32_e32 v17, 24, v54
	v_lshlrev_b64_e32 v[46:47], v4, v[54:55]
	s_delay_alu instid0(VALU_DEP_3) | instskip(NEXT) | instid1(VALU_DEP_3)
	v_lshl_add_u32 v2, v2, 23, 0x3c000000
	v_and_b32_e32 v17, 0x80000000, v17
	s_delay_alu instid0(VALU_DEP_3) | instskip(NEXT) | instid1(VALU_DEP_1)
	v_lshlrev_b32_e32 v4, 20, v46
	v_and_b32_e32 v4, 0x700000, v4
	s_delay_alu instid0(VALU_DEP_1)
	v_or3_b32 v4, v4, v17, v2
.LBB4_155:                              ;   in Loop: Header=BB4_129 Depth=3
	s_or_b32 exec_lo, exec_lo, s20
.LBB4_156:                              ;   in Loop: Header=BB4_129 Depth=3
	s_delay_alu instid0(SALU_CYCLE_1)
	s_or_b32 exec_lo, exec_lo, s19
.LBB4_157:                              ;   in Loop: Header=BB4_129 Depth=3
	s_delay_alu instid0(SALU_CYCLE_1) | instskip(NEXT) | instid1(VALU_DEP_1)
	s_or_b32 exec_lo, exec_lo, s8
	v_dual_add_f32 v4, v5, v4 :: v_dual_mov_b32 v47, v55
                                        ; implicit-def: $vgpr2
	s_mov_b32 s8, exec_lo
	s_delay_alu instid0(VALU_DEP_1) | instskip(SKIP_1) | instid1(VALU_DEP_2)
	v_and_b32_e32 v46, 0x7f800000, v4
	v_lshrrev_b32_e32 v5, 24, v4
	v_cmpx_ne_u64_e32 0x7f800000, v[46:47]
	s_xor_b32 s19, exec_lo, s8
	s_cbranch_execz .LBB4_171
; %bb.158:                              ;   in Loop: Header=BB4_129 Depth=3
	v_and_b32_e32 v46, 0x7fffffff, v4
	v_mov_b32_e32 v47, v55
	v_and_b32_e32 v17, 0x80, v5
                                        ; implicit-def: $vgpr2
	s_mov_b32 s8, exec_lo
	s_delay_alu instid0(VALU_DEP_2)
	v_cmpx_gt_u64_e32 0x43e00001, v[46:47]
	s_xor_b32 s20, exec_lo, s8
	s_cbranch_execz .LBB4_168
; %bb.159:                              ;   in Loop: Header=BB4_129 Depth=3
	v_mov_b32_e32 v2, 0
	s_mov_b32 s21, exec_lo
	v_cmpx_ne_u32_e32 0, v4
	s_cbranch_execz .LBB4_167
; %bb.160:                              ;   in Loop: Header=BB4_129 Depth=3
	v_bfe_u32 v2, v4, 23, 8
	v_and_b32_e32 v46, 0x7fffff, v4
	s_mov_b32 s22, exec_lo
	s_delay_alu instid0(VALU_DEP_2) | instskip(SKIP_3) | instid1(VALU_DEP_1)
	v_sub_nc_u32_e32 v5, 0x79, v2
	v_cmp_gt_u32_e64 s8, 0x7a, v2
	v_cmp_eq_u32_e32 vcc_lo, 0, v2
	v_or_b32_e32 v47, 0x800000, v46
	v_dual_cndmask_b32 v5, 0, v5, s8 :: v_dual_cndmask_b32 v46, v47, v46, vcc_lo
	v_mov_b32_e32 v47, v55
	s_delay_alu instid0(VALU_DEP_2) | instskip(NEXT) | instid1(VALU_DEP_1)
	v_cndmask_b32_e64 v62, v5, 0x78, vcc_lo
	v_dual_add_nc_u32 v4, 20, v62 :: v_dual_add_nc_u32 v74, 19, v62
	s_delay_alu instid0(VALU_DEP_1) | instskip(NEXT) | instid1(VALU_DEP_2)
	v_lshlrev_b64_e64 v[4:5], v4, -1
	v_lshlrev_b64_e64 v[74:75], v74, 1
	s_delay_alu instid0(VALU_DEP_2) | instskip(NEXT) | instid1(VALU_DEP_3)
	v_bfi_b32 v77, v5, 0, 0
	v_bfi_b32 v76, v4, 0, v46
	v_lshrrev_b64 v[4:5], v62, v[46:47]
	s_delay_alu instid0(VALU_DEP_1) | instskip(NEXT) | instid1(VALU_DEP_3)
	v_mov_b64_e32 v[46:47], v[4:5]
	v_cmpx_eq_u64_e64 v[76:77], v[74:75]
; %bb.161:                              ;   in Loop: Header=BB4_129 Depth=3
	v_bfe_u32 v46, v4, 20, 1
	v_mov_b32_e32 v47, v55
	s_delay_alu instid0(VALU_DEP_1) | instskip(NEXT) | instid1(VALU_DEP_1)
	v_add_nc_u64_e32 v[46:47], v[4:5], v[46:47]
	v_add_nc_u64_e32 v[46:47], -1, v[46:47]
; %bb.162:                              ;   in Loop: Header=BB4_129 Depth=3
	s_or_b32 exec_lo, exec_lo, s22
	v_add_nc_u32_e32 v2, 0xffffff81, v2
	v_lshrrev_b32_e32 v5, 23, v4
	s_mov_b32 s8, exec_lo
	s_delay_alu instid0(VALU_DEP_2) | instskip(NEXT) | instid1(VALU_DEP_1)
	v_cndmask_b32_e64 v2, v2, 0xffffff82, vcc_lo
	v_add3_u32 v47, v62, v2, v5
	v_and_b32_e32 v2, 0xfffff, v46
	s_delay_alu instid0(VALU_DEP_2) | instskip(NEXT) | instid1(VALU_DEP_2)
	v_dual_mov_b32 v5, v55 :: v_dual_add_nc_u32 v46, 6, v47
	v_add_nc_u32_e32 v4, v2, v4
                                        ; implicit-def: $vgpr2
	s_delay_alu instid0(VALU_DEP_2)
	v_cmpx_ne_u32_e32 0, v46
	s_xor_b32 s8, exec_lo, s8
; %bb.163:                              ;   in Loop: Header=BB4_129 Depth=3
	s_delay_alu instid0(VALU_DEP_2) | instskip(SKIP_1) | instid1(VALU_DEP_1)
	v_cmp_lt_u64_e32 vcc_lo, 0xffffff, v[4:5]
	v_add_nc_u32_e32 v2, 7, v47
	v_cndmask_b32_e32 v2, v46, v2, vcc_lo
	v_cndmask_b32_e64 v46, 0, 1, vcc_lo
	s_delay_alu instid0(VALU_DEP_1)
	v_lshrrev_b64 v[4:5], v46, v[4:5]
; %bb.164:                              ;   in Loop: Header=BB4_129 Depth=3
	s_and_not1_saveexec_b32 s8, s8
; %bb.165:                              ;   in Loop: Header=BB4_129 Depth=3
	s_delay_alu instid0(VALU_DEP_1)
	v_bfe_u32 v2, v4, 23, 1
; %bb.166:                              ;   in Loop: Header=BB4_129 Depth=3
	s_or_b32 exec_lo, exec_lo, s8
	s_delay_alu instid0(VALU_DEP_2) | instskip(NEXT) | instid1(VALU_DEP_2)
	v_lshrrev_b64 v[4:5], 20, v[4:5]
	v_cmp_gt_i32_e32 vcc_lo, 16, v2
	v_min_i32_e32 v46, 15, v2
	v_cmp_eq_u32_e64 s8, 0, v2
	s_delay_alu instid0(VALU_DEP_2) | instskip(SKIP_1) | instid1(VALU_DEP_2)
	v_dual_cndmask_b32 v5, 0, v5 :: v_dual_lshlrev_b32 v46, 3, v46
	v_cndmask_b32_e32 v4, 7, v4, vcc_lo
	v_and_b32_e32 v46, 0xf8, v46
	s_delay_alu instid0(VALU_DEP_2) | instskip(NEXT) | instid1(VALU_DEP_2)
	v_cmp_eq_u64_e32 vcc_lo, 0, v[4:5]
	v_and_or_b32 v2, v4, 7, v46
	s_and_b32 s8, s8, vcc_lo
	s_delay_alu instid0(VALU_DEP_1) | instid1(SALU_CYCLE_1)
	v_cndmask_b32_e64 v2, v2, 0, s8
	s_delay_alu instid0(VALU_DEP_1)
	v_or_b32_e32 v2, v2, v17
.LBB4_167:                              ;   in Loop: Header=BB4_129 Depth=3
	s_or_b32 exec_lo, exec_lo, s21
                                        ; implicit-def: $vgpr17
.LBB4_168:                              ;   in Loop: Header=BB4_129 Depth=3
	s_and_not1_saveexec_b32 s8, s20
; %bb.169:                              ;   in Loop: Header=BB4_129 Depth=3
	v_or_b32_e32 v2, 0x7e, v17
; %bb.170:                              ;   in Loop: Header=BB4_129 Depth=3
	s_or_b32 exec_lo, exec_lo, s8
                                        ; implicit-def: $vgpr5
.LBB4_171:                              ;   in Loop: Header=BB4_129 Depth=3
	s_and_not1_saveexec_b32 s8, s19
; %bb.172:                              ;   in Loop: Header=BB4_129 Depth=3
	v_or_b32_e32 v2, 0x7f, v5
; %bb.173:                              ;   in Loop: Header=BB4_129 Depth=3
	s_or_b32 exec_lo, exec_lo, s8
	v_lshrrev_b16 v4, 8, v16
	v_dual_mov_b32 v17, 0 :: v_dual_mov_b32 v46, 0
	s_mov_b32 s8, exec_lo
	s_delay_alu instid0(VALU_DEP_2)
	v_cmpx_ne_u16_e32 0, v4
	s_cbranch_execz .LBB4_181
; %bb.174:                              ;   in Loop: Header=BB4_129 Depth=3
	v_bfrev_b32_e32 v46, 1
	s_mov_b32 s19, exec_lo
	v_cmpx_ne_u16_e32 0x80, v4
	s_cbranch_execz .LBB4_180
; %bb.175:                              ;   in Loop: Header=BB4_129 Depth=3
	v_and_b32_e32 v4, 0xffff, v4
	v_mov_b32_e32 v46, 0x7f800001
	s_mov_b32 s20, exec_lo
	s_delay_alu instid0(VALU_DEP_2) | instskip(NEXT) | instid1(VALU_DEP_1)
	v_and_b32_e32 v47, 0x7f, v4
	v_cmpx_ne_u32_e32 0x7f, v47
	s_cbranch_execz .LBB4_179
; %bb.176:                              ;   in Loop: Header=BB4_129 Depth=3
	v_dual_mov_b32 v5, v55 :: v_dual_bitop2_b32 v4, 7, v4 bitop3:0x40
	v_lshrrev_b32_e32 v46, 3, v47
	s_mov_b32 s21, exec_lo
	v_cmpx_gt_u32_e32 8, v47
; %bb.177:                              ;   in Loop: Header=BB4_129 Depth=3
	s_delay_alu instid0(VALU_DEP_3) | instskip(NEXT) | instid1(VALU_DEP_1)
	v_clz_i32_u32_e32 v46, v4
	v_min_u32_e32 v46, 32, v46
	s_delay_alu instid0(VALU_DEP_1) | instskip(NEXT) | instid1(VALU_DEP_1)
	v_subrev_nc_u32_e32 v47, 28, v46
	v_lshlrev_b64_e32 v[4:5], v47, v[4:5]
	s_delay_alu instid0(VALU_DEP_1)
	v_dual_sub_nc_u32 v46, 29, v46 :: v_dual_bitop2_b32 v4, 7, v4 bitop3:0x40
; %bb.178:                              ;   in Loop: Header=BB4_129 Depth=3
	s_or_b32 exec_lo, exec_lo, s21
	v_lshlrev_b32_e32 v5, 16, v16
	s_delay_alu instid0(VALU_DEP_2) | instskip(NEXT) | instid1(VALU_DEP_3)
	v_lshlrev_b32_e32 v4, 20, v4
	v_lshl_add_u32 v46, v46, 23, 0x3c000000
	s_delay_alu instid0(VALU_DEP_3) | instskip(NEXT) | instid1(VALU_DEP_1)
	v_and_b32_e32 v5, 0x80000000, v5
	v_or3_b32 v46, v4, v5, v46
.LBB4_179:                              ;   in Loop: Header=BB4_129 Depth=3
	s_or_b32 exec_lo, exec_lo, s20
.LBB4_180:                              ;   in Loop: Header=BB4_129 Depth=3
	s_delay_alu instid0(SALU_CYCLE_1)
	s_or_b32 exec_lo, exec_lo, s19
.LBB4_181:                              ;   in Loop: Header=BB4_129 Depth=3
	s_delay_alu instid0(SALU_CYCLE_1) | instskip(SKIP_2) | instid1(VALU_DEP_1)
	s_or_b32 exec_lo, exec_lo, s8
	v_lshrrev_b16 v4, 8, v54
	s_mov_b32 s8, exec_lo
	v_cmpx_ne_u16_e32 0, v4
	s_cbranch_execz .LBB4_189
; %bb.182:                              ;   in Loop: Header=BB4_129 Depth=3
	v_bfrev_b32_e32 v17, 1
	s_mov_b32 s19, exec_lo
	v_cmpx_ne_u16_e32 0x80, v4
	s_cbranch_execz .LBB4_188
; %bb.183:                              ;   in Loop: Header=BB4_129 Depth=3
	v_and_b32_e32 v4, 0xffff, v4
	v_mov_b32_e32 v17, 0x7f800001
	s_mov_b32 s20, exec_lo
	s_delay_alu instid0(VALU_DEP_2) | instskip(NEXT) | instid1(VALU_DEP_1)
	v_and_b32_e32 v47, 0x7f, v4
	v_cmpx_ne_u32_e32 0x7f, v47
	s_cbranch_execz .LBB4_187
; %bb.184:                              ;   in Loop: Header=BB4_129 Depth=3
	v_dual_mov_b32 v5, v55 :: v_dual_bitop2_b32 v4, 7, v4 bitop3:0x40
	v_lshrrev_b32_e32 v17, 3, v47
	s_mov_b32 s21, exec_lo
	v_cmpx_gt_u32_e32 8, v47
; %bb.185:                              ;   in Loop: Header=BB4_129 Depth=3
	s_delay_alu instid0(VALU_DEP_3) | instskip(NEXT) | instid1(VALU_DEP_1)
	v_clz_i32_u32_e32 v17, v4
	v_min_u32_e32 v17, 32, v17
	s_delay_alu instid0(VALU_DEP_1) | instskip(NEXT) | instid1(VALU_DEP_1)
	v_subrev_nc_u32_e32 v47, 28, v17
	v_lshlrev_b64_e32 v[4:5], v47, v[4:5]
	s_delay_alu instid0(VALU_DEP_1)
	v_dual_sub_nc_u32 v17, 29, v17 :: v_dual_bitop2_b32 v4, 7, v4 bitop3:0x40
; %bb.186:                              ;   in Loop: Header=BB4_129 Depth=3
	s_or_b32 exec_lo, exec_lo, s21
	s_delay_alu instid0(VALU_DEP_1) | instskip(NEXT) | instid1(VALU_DEP_2)
	v_dual_lshlrev_b32 v5, 16, v54 :: v_dual_lshlrev_b32 v4, 20, v4
	v_lshl_add_u32 v17, v17, 23, 0x3c000000
	s_delay_alu instid0(VALU_DEP_2) | instskip(NEXT) | instid1(VALU_DEP_1)
	v_and_b32_e32 v5, 0x80000000, v5
	v_or3_b32 v17, v4, v5, v17
.LBB4_187:                              ;   in Loop: Header=BB4_129 Depth=3
	s_or_b32 exec_lo, exec_lo, s20
.LBB4_188:                              ;   in Loop: Header=BB4_129 Depth=3
	s_delay_alu instid0(SALU_CYCLE_1)
	s_or_b32 exec_lo, exec_lo, s19
.LBB4_189:                              ;   in Loop: Header=BB4_129 Depth=3
	s_delay_alu instid0(SALU_CYCLE_1) | instskip(NEXT) | instid1(VALU_DEP_1)
	s_or_b32 exec_lo, exec_lo, s8
	v_dual_add_f32 v4, v46, v17 :: v_dual_mov_b32 v47, v55
                                        ; implicit-def: $vgpr62
	s_mov_b32 s8, exec_lo
	s_delay_alu instid0(VALU_DEP_1) | instskip(SKIP_1) | instid1(VALU_DEP_2)
	v_and_b32_e32 v46, 0x7f800000, v4
	v_lshrrev_b32_e32 v5, 24, v4
	v_cmpx_ne_u64_e32 0x7f800000, v[46:47]
	s_xor_b32 s19, exec_lo, s8
	s_cbranch_execz .LBB4_203
; %bb.190:                              ;   in Loop: Header=BB4_129 Depth=3
	v_and_b32_e32 v46, 0x7fffffff, v4
	v_mov_b32_e32 v47, v55
	v_and_b32_e32 v17, 0x80, v5
                                        ; implicit-def: $vgpr62
	s_mov_b32 s8, exec_lo
	s_delay_alu instid0(VALU_DEP_2)
	v_cmpx_gt_u64_e32 0x43e00001, v[46:47]
	s_xor_b32 s20, exec_lo, s8
	s_cbranch_execz .LBB4_200
; %bb.191:                              ;   in Loop: Header=BB4_129 Depth=3
	v_mov_b32_e32 v62, 0
	s_mov_b32 s21, exec_lo
	v_cmpx_ne_u32_e32 0, v4
	s_cbranch_execz .LBB4_199
; %bb.192:                              ;   in Loop: Header=BB4_129 Depth=3
	v_bfe_u32 v62, v4, 23, 8
	v_and_b32_e32 v46, 0x7fffff, v4
	s_mov_b32 s22, exec_lo
	s_delay_alu instid0(VALU_DEP_2) | instskip(SKIP_1) | instid1(VALU_DEP_3)
	v_sub_nc_u32_e32 v5, 0x79, v62
	v_cmp_gt_u32_e32 vcc_lo, 0x7a, v62
	v_or_b32_e32 v47, 0x800000, v46
	s_delay_alu instid0(VALU_DEP_3) | instskip(SKIP_1) | instid1(VALU_DEP_2)
	v_cndmask_b32_e32 v5, 0, v5, vcc_lo
	v_cmp_eq_u32_e32 vcc_lo, 0, v62
	v_cndmask_b32_e64 v74, v5, 0x78, vcc_lo
	s_delay_alu instid0(VALU_DEP_4) | instskip(NEXT) | instid1(VALU_DEP_2)
	v_cndmask_b32_e32 v46, v47, v46, vcc_lo
	v_dual_mov_b32 v47, v55 :: v_dual_add_nc_u32 v75, 19, v74
	v_add_nc_u32_e32 v4, 20, v74
	s_delay_alu instid0(VALU_DEP_2) | instskip(NEXT) | instid1(VALU_DEP_2)
	v_lshlrev_b64_e64 v[76:77], v75, 1
	v_lshlrev_b64_e64 v[4:5], v4, -1
	s_delay_alu instid0(VALU_DEP_1) | instskip(NEXT) | instid1(VALU_DEP_2)
	v_bfi_b32 v79, v5, 0, 0
	v_bfi_b32 v78, v4, 0, v46
	v_lshrrev_b64 v[4:5], v74, v[46:47]
	s_delay_alu instid0(VALU_DEP_1) | instskip(NEXT) | instid1(VALU_DEP_3)
	v_mov_b64_e32 v[46:47], v[4:5]
	v_cmpx_eq_u64_e64 v[78:79], v[76:77]
; %bb.193:                              ;   in Loop: Header=BB4_129 Depth=3
	v_bfe_u32 v46, v4, 20, 1
	v_mov_b32_e32 v47, v55
	s_delay_alu instid0(VALU_DEP_1) | instskip(NEXT) | instid1(VALU_DEP_1)
	v_add_nc_u64_e32 v[46:47], v[4:5], v[46:47]
	v_add_nc_u64_e32 v[46:47], -1, v[46:47]
; %bb.194:                              ;   in Loop: Header=BB4_129 Depth=3
	s_or_b32 exec_lo, exec_lo, s22
	v_add_nc_u32_e32 v5, 0xffffff81, v62
	v_lshrrev_b32_e32 v47, 23, v4
	s_mov_b32 s8, exec_lo
	s_delay_alu instid0(VALU_DEP_2) | instskip(NEXT) | instid1(VALU_DEP_1)
	v_cndmask_b32_e64 v5, v5, 0xffffff82, vcc_lo
	v_add3_u32 v47, v74, v5, v47
	v_and_b32_e32 v5, 0xfffff, v46
                                        ; implicit-def: $vgpr46
	s_delay_alu instid0(VALU_DEP_1) | instskip(SKIP_1) | instid1(VALU_DEP_2)
	v_dual_add_nc_u32 v62, 6, v47 :: v_dual_add_nc_u32 v4, v5, v4
	v_mov_b32_e32 v5, v55
	v_cmpx_ne_u32_e32 0, v62
	s_xor_b32 s8, exec_lo, s8
; %bb.195:                              ;   in Loop: Header=BB4_129 Depth=3
	s_delay_alu instid0(VALU_DEP_2) | instskip(SKIP_2) | instid1(VALU_DEP_2)
	v_cmp_lt_u64_e32 vcc_lo, 0xffffff, v[4:5]
	v_add_nc_u32_e32 v46, 7, v47
	v_cndmask_b32_e64 v47, 0, 1, vcc_lo
	v_cndmask_b32_e32 v46, v62, v46, vcc_lo
	s_delay_alu instid0(VALU_DEP_2)
	v_lshrrev_b64 v[4:5], v47, v[4:5]
; %bb.196:                              ;   in Loop: Header=BB4_129 Depth=3
	s_and_not1_saveexec_b32 s8, s8
; %bb.197:                              ;   in Loop: Header=BB4_129 Depth=3
	s_delay_alu instid0(VALU_DEP_1)
	v_bfe_u32 v46, v4, 23, 1
; %bb.198:                              ;   in Loop: Header=BB4_129 Depth=3
	s_or_b32 exec_lo, exec_lo, s8
	s_delay_alu instid0(VALU_DEP_2) | instskip(NEXT) | instid1(VALU_DEP_2)
	v_lshrrev_b64 v[4:5], 20, v[4:5]
	v_cmp_gt_i32_e32 vcc_lo, 16, v46
	v_min_i32_e32 v47, 15, v46
	v_cmp_eq_u32_e64 s8, 0, v46
	s_delay_alu instid0(VALU_DEP_2) | instskip(SKIP_1) | instid1(VALU_DEP_2)
	v_dual_cndmask_b32 v5, 0, v5, vcc_lo :: v_dual_lshlrev_b32 v47, 3, v47
	v_cndmask_b32_e32 v4, 7, v4, vcc_lo
	v_and_b32_e32 v47, 0xf8, v47
	s_delay_alu instid0(VALU_DEP_2) | instskip(NEXT) | instid1(VALU_DEP_2)
	v_cmp_eq_u64_e32 vcc_lo, 0, v[4:5]
	v_and_or_b32 v4, v4, 7, v47
	s_and_b32 s8, s8, vcc_lo
	s_delay_alu instid0(VALU_DEP_1) | instid1(SALU_CYCLE_1)
	v_cndmask_b32_e64 v4, v4, 0, s8
	s_delay_alu instid0(VALU_DEP_1)
	v_or_b32_e32 v62, v4, v17
.LBB4_199:                              ;   in Loop: Header=BB4_129 Depth=3
	s_or_b32 exec_lo, exec_lo, s21
                                        ; implicit-def: $vgpr17
.LBB4_200:                              ;   in Loop: Header=BB4_129 Depth=3
	s_and_not1_saveexec_b32 s8, s20
; %bb.201:                              ;   in Loop: Header=BB4_129 Depth=3
	v_or_b32_e32 v62, 0x7e, v17
; %bb.202:                              ;   in Loop: Header=BB4_129 Depth=3
	s_or_b32 exec_lo, exec_lo, s8
                                        ; implicit-def: $vgpr5
.LBB4_203:                              ;   in Loop: Header=BB4_129 Depth=3
	s_and_not1_saveexec_b32 s8, s19
; %bb.204:                              ;   in Loop: Header=BB4_129 Depth=3
	v_or_b32_e32 v62, 0x7f, v5
; %bb.205:                              ;   in Loop: Header=BB4_129 Depth=3
	s_or_b32 exec_lo, exec_lo, s8
	v_dual_lshrrev_b32 v47, 16, v16 :: v_dual_mov_b32 v17, 0
	v_mov_b32_e32 v46, 0
	s_mov_b32 s8, exec_lo
	s_delay_alu instid0(VALU_DEP_2) | instskip(NEXT) | instid1(VALU_DEP_1)
	v_and_b32_e32 v4, 0xff, v47
	v_cmpx_ne_u16_e32 0, v4
	s_cbranch_execz .LBB4_213
; %bb.206:                              ;   in Loop: Header=BB4_129 Depth=3
	v_bfrev_b32_e32 v46, 1
	s_mov_b32 s19, exec_lo
	v_cmpx_ne_u16_e32 0x80, v4
	s_cbranch_execz .LBB4_212
; %bb.207:                              ;   in Loop: Header=BB4_129 Depth=3
	v_bfe_u32 v74, v16, 16, 7
	v_mov_b32_e32 v46, 0x7f800001
	s_mov_b32 s20, exec_lo
	s_delay_alu instid0(VALU_DEP_2)
	v_cmpx_ne_u32_e32 0x7f, v74
	s_cbranch_execz .LBB4_211
; %bb.208:                              ;   in Loop: Header=BB4_129 Depth=3
	v_dual_mov_b32 v5, v55 :: v_dual_bitop2_b32 v4, 7, v47 bitop3:0x40
	v_lshrrev_b32_e32 v46, 3, v74
	s_mov_b32 s21, exec_lo
	v_cmpx_gt_u32_e32 8, v74
; %bb.209:                              ;   in Loop: Header=BB4_129 Depth=3
	s_delay_alu instid0(VALU_DEP_3) | instskip(NEXT) | instid1(VALU_DEP_1)
	v_clz_i32_u32_e32 v46, v4
	v_min_u32_e32 v46, 32, v46
	s_delay_alu instid0(VALU_DEP_1) | instskip(NEXT) | instid1(VALU_DEP_1)
	v_subrev_nc_u32_e32 v74, 28, v46
	v_lshlrev_b64_e32 v[4:5], v74, v[4:5]
	s_delay_alu instid0(VALU_DEP_1)
	v_dual_sub_nc_u32 v46, 29, v46 :: v_dual_bitop2_b32 v4, 7, v4 bitop3:0x40
; %bb.210:                              ;   in Loop: Header=BB4_129 Depth=3
	s_or_b32 exec_lo, exec_lo, s21
	s_delay_alu instid0(VALU_DEP_1) | instskip(NEXT) | instid1(VALU_DEP_2)
	v_dual_lshlrev_b32 v5, 24, v47 :: v_dual_lshlrev_b32 v4, 20, v4
	v_lshl_add_u32 v46, v46, 23, 0x3c000000
	s_delay_alu instid0(VALU_DEP_2) | instskip(NEXT) | instid1(VALU_DEP_1)
	v_and_b32_e32 v5, 0x80000000, v5
	v_or3_b32 v46, v4, v5, v46
.LBB4_211:                              ;   in Loop: Header=BB4_129 Depth=3
	s_or_b32 exec_lo, exec_lo, s20
.LBB4_212:                              ;   in Loop: Header=BB4_129 Depth=3
	s_delay_alu instid0(SALU_CYCLE_1)
	s_or_b32 exec_lo, exec_lo, s19
.LBB4_213:                              ;   in Loop: Header=BB4_129 Depth=3
	s_delay_alu instid0(SALU_CYCLE_1) | instskip(SKIP_2) | instid1(VALU_DEP_1)
	s_or_b32 exec_lo, exec_lo, s8
	v_lshrrev_b32_e32 v4, 16, v54
	s_mov_b32 s8, exec_lo
	v_and_b32_e32 v5, 0xff, v4
	s_delay_alu instid0(VALU_DEP_1)
	v_cmpx_ne_u16_e32 0, v5
	s_cbranch_execz .LBB4_221
; %bb.214:                              ;   in Loop: Header=BB4_129 Depth=3
	v_bfrev_b32_e32 v17, 1
	s_mov_b32 s19, exec_lo
	v_cmpx_ne_u16_e32 0x80, v5
	s_cbranch_execz .LBB4_220
; %bb.215:                              ;   in Loop: Header=BB4_129 Depth=3
	v_bfe_u32 v47, v54, 16, 7
	v_mov_b32_e32 v17, 0x7f800001
	s_mov_b32 s20, exec_lo
	s_delay_alu instid0(VALU_DEP_2)
	v_cmpx_ne_u32_e32 0x7f, v47
	s_cbranch_execz .LBB4_219
; %bb.216:                              ;   in Loop: Header=BB4_129 Depth=3
	v_dual_mov_b32 v5, v55 :: v_dual_bitop2_b32 v4, 7, v4 bitop3:0x40
	v_lshrrev_b32_e32 v17, 3, v47
	s_mov_b32 s21, exec_lo
	v_cmpx_gt_u32_e32 8, v47
; %bb.217:                              ;   in Loop: Header=BB4_129 Depth=3
	s_delay_alu instid0(VALU_DEP_3) | instskip(NEXT) | instid1(VALU_DEP_1)
	v_clz_i32_u32_e32 v17, v4
	v_min_u32_e32 v17, 32, v17
	s_delay_alu instid0(VALU_DEP_1) | instskip(NEXT) | instid1(VALU_DEP_1)
	v_subrev_nc_u32_e32 v47, 28, v17
	v_lshlrev_b64_e32 v[4:5], v47, v[4:5]
	s_delay_alu instid0(VALU_DEP_1)
	v_dual_sub_nc_u32 v17, 29, v17 :: v_dual_bitop2_b32 v4, 7, v4 bitop3:0x40
; %bb.218:                              ;   in Loop: Header=BB4_129 Depth=3
	s_or_b32 exec_lo, exec_lo, s21
	s_delay_alu instid0(VALU_DEP_1) | instskip(NEXT) | instid1(VALU_DEP_2)
	v_dual_lshlrev_b32 v5, 8, v54 :: v_dual_lshlrev_b32 v4, 20, v4
	v_lshl_add_u32 v17, v17, 23, 0x3c000000
	s_delay_alu instid0(VALU_DEP_2) | instskip(NEXT) | instid1(VALU_DEP_1)
	v_and_b32_e32 v5, 0x80000000, v5
	v_or3_b32 v17, v4, v5, v17
.LBB4_219:                              ;   in Loop: Header=BB4_129 Depth=3
	s_or_b32 exec_lo, exec_lo, s20
.LBB4_220:                              ;   in Loop: Header=BB4_129 Depth=3
	s_delay_alu instid0(SALU_CYCLE_1)
	s_or_b32 exec_lo, exec_lo, s19
.LBB4_221:                              ;   in Loop: Header=BB4_129 Depth=3
	s_delay_alu instid0(SALU_CYCLE_1) | instskip(NEXT) | instid1(VALU_DEP_1)
	s_or_b32 exec_lo, exec_lo, s8
	v_dual_add_f32 v4, v46, v17 :: v_dual_mov_b32 v47, v55
	s_delay_alu instid0(VALU_DEP_1) | instskip(SKIP_1) | instid1(VALU_DEP_2)
	v_and_b32_e32 v46, 0x7f800000, v4
	v_lshrrev_b32_e32 v5, 24, v4
	v_cmp_ne_u64_e32 vcc_lo, 0x7f800000, v[46:47]
                                        ; implicit-def: $vgpr46
	s_and_saveexec_b32 s8, vcc_lo
	s_delay_alu instid0(SALU_CYCLE_1)
	s_xor_b32 s19, exec_lo, s8
	s_cbranch_execz .LBB4_235
; %bb.222:                              ;   in Loop: Header=BB4_129 Depth=3
	v_and_b32_e32 v46, 0x7fffffff, v4
	v_mov_b32_e32 v47, v55
	v_and_b32_e32 v17, 0x80, v5
	s_delay_alu instid0(VALU_DEP_2) | instskip(SKIP_1) | instid1(SALU_CYCLE_1)
	v_cmp_gt_u64_e32 vcc_lo, 0x43e00001, v[46:47]
                                        ; implicit-def: $vgpr46
	s_and_saveexec_b32 s8, vcc_lo
	s_xor_b32 s20, exec_lo, s8
	s_cbranch_execz .LBB4_232
; %bb.223:                              ;   in Loop: Header=BB4_129 Depth=3
	v_mov_b32_e32 v46, 0
	s_mov_b32 s21, exec_lo
	v_cmpx_ne_u32_e32 0, v4
	s_cbranch_execz .LBB4_231
; %bb.224:                              ;   in Loop: Header=BB4_129 Depth=3
	v_bfe_u32 v74, v4, 23, 8
	v_and_b32_e32 v46, 0x7fffff, v4
	s_mov_b32 s22, exec_lo
	s_delay_alu instid0(VALU_DEP_2) | instskip(SKIP_1) | instid1(VALU_DEP_3)
	v_sub_nc_u32_e32 v5, 0x79, v74
	v_cmp_gt_u32_e32 vcc_lo, 0x7a, v74
	v_or_b32_e32 v47, 0x800000, v46
	s_delay_alu instid0(VALU_DEP_3) | instskip(SKIP_1) | instid1(VALU_DEP_2)
	v_cndmask_b32_e32 v5, 0, v5, vcc_lo
	v_cmp_eq_u32_e32 vcc_lo, 0, v74
	v_cndmask_b32_e64 v75, v5, 0x78, vcc_lo
	s_delay_alu instid0(VALU_DEP_4) | instskip(NEXT) | instid1(VALU_DEP_2)
	v_cndmask_b32_e32 v46, v47, v46, vcc_lo
	v_dual_mov_b32 v47, v55 :: v_dual_add_nc_u32 v4, 20, v75
	v_add_nc_u32_e32 v76, 19, v75
	s_delay_alu instid0(VALU_DEP_2) | instskip(NEXT) | instid1(VALU_DEP_2)
	v_lshlrev_b64_e64 v[4:5], v4, -1
	v_lshlrev_b64_e64 v[76:77], v76, 1
	s_delay_alu instid0(VALU_DEP_2) | instskip(NEXT) | instid1(VALU_DEP_3)
	v_bfi_b32 v79, v5, 0, 0
	v_bfi_b32 v78, v4, 0, v46
	v_lshrrev_b64 v[4:5], v75, v[46:47]
	s_delay_alu instid0(VALU_DEP_1) | instskip(NEXT) | instid1(VALU_DEP_3)
	v_mov_b64_e32 v[46:47], v[4:5]
	v_cmpx_eq_u64_e64 v[78:79], v[76:77]
; %bb.225:                              ;   in Loop: Header=BB4_129 Depth=3
	v_bfe_u32 v46, v4, 20, 1
	v_mov_b32_e32 v47, v55
	s_delay_alu instid0(VALU_DEP_1) | instskip(NEXT) | instid1(VALU_DEP_1)
	v_add_nc_u64_e32 v[46:47], v[4:5], v[46:47]
	v_add_nc_u64_e32 v[46:47], -1, v[46:47]
; %bb.226:                              ;   in Loop: Header=BB4_129 Depth=3
	s_or_b32 exec_lo, exec_lo, s22
	v_add_nc_u32_e32 v5, 0xffffff81, v74
	v_lshrrev_b32_e32 v47, 23, v4
	s_mov_b32 s8, exec_lo
	s_delay_alu instid0(VALU_DEP_2) | instskip(NEXT) | instid1(VALU_DEP_1)
	v_cndmask_b32_e64 v5, v5, 0xffffff82, vcc_lo
	v_add3_u32 v47, v75, v5, v47
	v_and_b32_e32 v5, 0xfffff, v46
                                        ; implicit-def: $vgpr46
	s_delay_alu instid0(VALU_DEP_1) | instskip(SKIP_1) | instid1(VALU_DEP_2)
	v_dual_add_nc_u32 v74, 6, v47 :: v_dual_add_nc_u32 v4, v5, v4
	v_mov_b32_e32 v5, v55
	v_cmpx_ne_u32_e32 0, v74
	s_xor_b32 s8, exec_lo, s8
; %bb.227:                              ;   in Loop: Header=BB4_129 Depth=3
	s_delay_alu instid0(VALU_DEP_2) | instskip(SKIP_2) | instid1(VALU_DEP_2)
	v_cmp_lt_u64_e32 vcc_lo, 0xffffff, v[4:5]
	v_add_nc_u32_e32 v46, 7, v47
	v_cndmask_b32_e64 v47, 0, 1, vcc_lo
	v_cndmask_b32_e32 v46, v74, v46, vcc_lo
	s_delay_alu instid0(VALU_DEP_2)
	v_lshrrev_b64 v[4:5], v47, v[4:5]
; %bb.228:                              ;   in Loop: Header=BB4_129 Depth=3
	s_and_not1_saveexec_b32 s8, s8
; %bb.229:                              ;   in Loop: Header=BB4_129 Depth=3
	s_delay_alu instid0(VALU_DEP_1)
	v_bfe_u32 v46, v4, 23, 1
; %bb.230:                              ;   in Loop: Header=BB4_129 Depth=3
	s_or_b32 exec_lo, exec_lo, s8
	s_delay_alu instid0(VALU_DEP_2) | instskip(NEXT) | instid1(VALU_DEP_2)
	v_lshrrev_b64 v[4:5], 20, v[4:5]
	v_cmp_gt_i32_e32 vcc_lo, 16, v46
	v_min_i32_e32 v47, 15, v46
	v_cmp_eq_u32_e64 s8, 0, v46
	s_delay_alu instid0(VALU_DEP_2) | instskip(SKIP_1) | instid1(VALU_DEP_2)
	v_dual_cndmask_b32 v5, 0, v5, vcc_lo :: v_dual_lshlrev_b32 v47, 3, v47
	v_cndmask_b32_e32 v4, 7, v4, vcc_lo
	v_and_b32_e32 v47, 0xf8, v47
	s_delay_alu instid0(VALU_DEP_2) | instskip(NEXT) | instid1(VALU_DEP_2)
	v_cmp_eq_u64_e32 vcc_lo, 0, v[4:5]
	v_and_or_b32 v4, v4, 7, v47
	s_and_b32 s8, s8, vcc_lo
	s_delay_alu instid0(VALU_DEP_1) | instid1(SALU_CYCLE_1)
	v_cndmask_b32_e64 v4, v4, 0, s8
	s_delay_alu instid0(VALU_DEP_1)
	v_or_b32_e32 v46, v4, v17
.LBB4_231:                              ;   in Loop: Header=BB4_129 Depth=3
	s_or_b32 exec_lo, exec_lo, s21
                                        ; implicit-def: $vgpr17
.LBB4_232:                              ;   in Loop: Header=BB4_129 Depth=3
	s_and_not1_saveexec_b32 s8, s20
; %bb.233:                              ;   in Loop: Header=BB4_129 Depth=3
	v_or_b32_e32 v46, 0x7e, v17
; %bb.234:                              ;   in Loop: Header=BB4_129 Depth=3
	s_or_b32 exec_lo, exec_lo, s8
                                        ; implicit-def: $vgpr5
.LBB4_235:                              ;   in Loop: Header=BB4_129 Depth=3
	s_and_not1_saveexec_b32 s8, s19
; %bb.236:                              ;   in Loop: Header=BB4_129 Depth=3
	v_or_b32_e32 v46, 0x7f, v5
; %bb.237:                              ;   in Loop: Header=BB4_129 Depth=3
	s_or_b32 exec_lo, exec_lo, s8
	v_dual_mov_b32 v17, 0 :: v_dual_mov_b32 v4, 0
	s_mov_b32 s8, exec_lo
	v_cmpx_lt_u32_e32 0xffffff, v16
	s_cbranch_execz .LBB4_245
; %bb.238:                              ;   in Loop: Header=BB4_129 Depth=3
	v_lshrrev_b32_e32 v47, 24, v16
	v_bfrev_b32_e32 v4, 1
	s_mov_b32 s19, exec_lo
	s_delay_alu instid0(VALU_DEP_2)
	v_cmpx_ne_u32_e32 0x80, v47
	s_cbranch_execz .LBB4_244
; %bb.239:                              ;   in Loop: Header=BB4_129 Depth=3
	v_bfe_u32 v74, v16, 24, 7
	v_mov_b32_e32 v4, 0x7f800001
	s_mov_b32 s20, exec_lo
	s_delay_alu instid0(VALU_DEP_2)
	v_cmpx_ne_u32_e32 0x7f, v74
	s_cbranch_execz .LBB4_243
; %bb.240:                              ;   in Loop: Header=BB4_129 Depth=3
	v_dual_mov_b32 v5, v55 :: v_dual_bitop2_b32 v4, 7, v47 bitop3:0x40
	v_lshrrev_b32_e32 v16, 3, v74
	s_mov_b32 s21, exec_lo
	v_cmpx_gt_u32_e32 8, v74
; %bb.241:                              ;   in Loop: Header=BB4_129 Depth=3
	s_delay_alu instid0(VALU_DEP_3) | instskip(NEXT) | instid1(VALU_DEP_1)
	v_clz_i32_u32_e32 v16, v4
	v_min_u32_e32 v16, 32, v16
	s_delay_alu instid0(VALU_DEP_1) | instskip(SKIP_1) | instid1(VALU_DEP_2)
	v_subrev_nc_u32_e32 v74, 28, v16
	v_sub_nc_u32_e32 v16, 29, v16
	v_lshlrev_b64_e32 v[4:5], v74, v[4:5]
	s_delay_alu instid0(VALU_DEP_1)
	v_and_b32_e32 v4, 7, v4
; %bb.242:                              ;   in Loop: Header=BB4_129 Depth=3
	s_or_b32 exec_lo, exec_lo, s21
	s_delay_alu instid0(VALU_DEP_1) | instskip(SKIP_1) | instid1(VALU_DEP_2)
	v_dual_lshlrev_b32 v5, 24, v47 :: v_dual_lshlrev_b32 v4, 20, v4
	v_lshl_add_u32 v16, v16, 23, 0x3c000000
	v_and_b32_e32 v5, 0x80000000, v5
	s_delay_alu instid0(VALU_DEP_1)
	v_or3_b32 v4, v4, v5, v16
.LBB4_243:                              ;   in Loop: Header=BB4_129 Depth=3
	s_or_b32 exec_lo, exec_lo, s20
.LBB4_244:                              ;   in Loop: Header=BB4_129 Depth=3
	s_delay_alu instid0(SALU_CYCLE_1)
	s_or_b32 exec_lo, exec_lo, s19
.LBB4_245:                              ;   in Loop: Header=BB4_129 Depth=3
	s_delay_alu instid0(SALU_CYCLE_1) | instskip(NEXT) | instid1(SALU_CYCLE_1)
	s_or_b32 exec_lo, exec_lo, s8
	s_mov_b32 s8, exec_lo
	v_cmpx_lt_u32_e32 0xffffff, v54
	s_cbranch_execz .LBB4_253
; %bb.246:                              ;   in Loop: Header=BB4_129 Depth=3
	v_lshrrev_b32_e32 v5, 24, v54
	v_bfrev_b32_e32 v17, 1
	s_mov_b32 s19, exec_lo
	s_delay_alu instid0(VALU_DEP_2)
	v_cmpx_ne_u32_e32 0x80, v5
	s_cbranch_execz .LBB4_252
; %bb.247:                              ;   in Loop: Header=BB4_129 Depth=3
	v_bfe_u32 v47, v54, 24, 7
	v_mov_b32_e32 v17, 0x7f800001
	s_mov_b32 s20, exec_lo
	s_delay_alu instid0(VALU_DEP_2)
	v_cmpx_ne_u32_e32 0x7f, v47
	s_cbranch_execz .LBB4_251
; %bb.248:                              ;   in Loop: Header=BB4_129 Depth=3
	v_dual_lshrrev_b32 v16, 3, v47 :: v_dual_bitop2_b32 v54, 7, v5 bitop3:0x40
	s_mov_b32 s21, exec_lo
	v_cmpx_gt_u32_e32 8, v47
; %bb.249:                              ;   in Loop: Header=BB4_129 Depth=3
	s_delay_alu instid0(VALU_DEP_2) | instskip(NEXT) | instid1(VALU_DEP_1)
	v_clz_i32_u32_e32 v16, v54
	v_min_u32_e32 v16, 32, v16
	s_delay_alu instid0(VALU_DEP_1) | instskip(NEXT) | instid1(VALU_DEP_1)
	v_subrev_nc_u32_e32 v17, 28, v16
	v_lshlrev_b64_e32 v[74:75], v17, v[54:55]
	s_delay_alu instid0(VALU_DEP_1)
	v_dual_sub_nc_u32 v16, 29, v16 :: v_dual_bitop2_b32 v54, 7, v74 bitop3:0x40
; %bb.250:                              ;   in Loop: Header=BB4_129 Depth=3
	s_or_b32 exec_lo, exec_lo, s21
	s_delay_alu instid0(VALU_DEP_1) | instskip(NEXT) | instid1(VALU_DEP_2)
	v_dual_lshlrev_b32 v5, 24, v5 :: v_dual_lshlrev_b32 v17, 20, v54
	v_lshl_add_u32 v16, v16, 23, 0x3c000000
	s_delay_alu instid0(VALU_DEP_2) | instskip(NEXT) | instid1(VALU_DEP_1)
	v_and_b32_e32 v5, 0x80000000, v5
	v_or3_b32 v17, v17, v5, v16
.LBB4_251:                              ;   in Loop: Header=BB4_129 Depth=3
	s_or_b32 exec_lo, exec_lo, s20
.LBB4_252:                              ;   in Loop: Header=BB4_129 Depth=3
	s_delay_alu instid0(SALU_CYCLE_1)
	s_or_b32 exec_lo, exec_lo, s19
.LBB4_253:                              ;   in Loop: Header=BB4_129 Depth=3
	s_delay_alu instid0(SALU_CYCLE_1) | instskip(NEXT) | instid1(VALU_DEP_1)
	s_or_b32 exec_lo, exec_lo, s8
	v_add_f32_e32 v4, v4, v17
                                        ; implicit-def: $vgpr47
	s_mov_b32 s8, exec_lo
	s_delay_alu instid0(VALU_DEP_1) | instskip(SKIP_1) | instid1(VALU_DEP_2)
	v_and_b32_e32 v54, 0x7f800000, v4
	v_lshrrev_b32_e32 v5, 24, v4
	v_cmpx_ne_u64_e32 0x7f800000, v[54:55]
	s_xor_b32 s19, exec_lo, s8
	s_cbranch_execz .LBB4_267
; %bb.254:                              ;   in Loop: Header=BB4_129 Depth=3
	v_and_b32_e32 v54, 0x7fffffff, v4
	v_and_b32_e32 v74, 0x80, v5
                                        ; implicit-def: $vgpr47
	s_mov_b32 s8, exec_lo
	s_delay_alu instid0(VALU_DEP_2)
	v_cmpx_gt_u64_e32 0x43e00001, v[54:55]
	s_xor_b32 s20, exec_lo, s8
	s_cbranch_execz .LBB4_264
; %bb.255:                              ;   in Loop: Header=BB4_129 Depth=3
	v_mov_b32_e32 v47, 0
	s_mov_b32 s21, exec_lo
	v_cmpx_ne_u32_e32 0, v4
	s_cbranch_execz .LBB4_263
; %bb.256:                              ;   in Loop: Header=BB4_129 Depth=3
	v_bfe_u32 v47, v4, 23, 8
	v_and_b32_e32 v16, 0x7fffff, v4
	s_delay_alu instid0(VALU_DEP_2) | instskip(NEXT) | instid1(VALU_DEP_2)
	v_cmp_gt_u32_e32 vcc_lo, 0x7a, v47
	v_or_b32_e32 v17, 0x800000, v16
	v_sub_nc_u32_e32 v5, 0x79, v47
	s_delay_alu instid0(VALU_DEP_1) | instskip(SKIP_1) | instid1(VALU_DEP_2)
	v_cndmask_b32_e32 v5, 0, v5, vcc_lo
	v_cmp_eq_u32_e32 vcc_lo, 0, v47
	v_cndmask_b32_e64 v75, v5, 0x78, vcc_lo
	s_delay_alu instid0(VALU_DEP_1) | instskip(SKIP_1) | instid1(VALU_DEP_2)
	v_dual_cndmask_b32 v54, v17, v16, vcc_lo :: v_dual_add_nc_u32 v4, 20, v75
	v_add_nc_u32_e32 v76, 19, v75
	v_lshlrev_b64_e64 v[4:5], v4, -1
	s_delay_alu instid0(VALU_DEP_2) | instskip(NEXT) | instid1(VALU_DEP_2)
	v_lshlrev_b64_e64 v[16:17], v76, 1
	v_bfi_b32 v77, v5, 0, 0
	s_delay_alu instid0(VALU_DEP_3) | instskip(SKIP_1) | instid1(VALU_DEP_2)
	v_bfi_b32 v76, v4, 0, v54
	v_lshrrev_b64 v[4:5], v75, v[54:55]
	v_cmp_eq_u64_e64 s8, v[76:77], v[16:17]
	s_delay_alu instid0(VALU_DEP_2)
	v_mov_b64_e32 v[16:17], v[4:5]
	s_and_saveexec_b32 s22, s8
; %bb.257:                              ;   in Loop: Header=BB4_129 Depth=3
	v_bfe_u32 v54, v4, 20, 1
	s_delay_alu instid0(VALU_DEP_1) | instskip(NEXT) | instid1(VALU_DEP_1)
	v_add_nc_u64_e32 v[16:17], v[4:5], v[54:55]
	v_add_nc_u64_e32 v[16:17], -1, v[16:17]
; %bb.258:                              ;   in Loop: Header=BB4_129 Depth=3
	s_or_b32 exec_lo, exec_lo, s22
	v_add_nc_u32_e32 v5, 0xffffff81, v47
	v_lshrrev_b32_e32 v17, 23, v4
	s_mov_b32 s8, exec_lo
	s_delay_alu instid0(VALU_DEP_2) | instskip(NEXT) | instid1(VALU_DEP_1)
	v_cndmask_b32_e64 v5, v5, 0xffffff82, vcc_lo
	v_add3_u32 v17, v75, v5, v17
	v_and_b32_e32 v5, 0xfffff, v16
                                        ; implicit-def: $vgpr16
	s_delay_alu instid0(VALU_DEP_1) | instskip(NEXT) | instid1(VALU_DEP_1)
	v_dual_add_nc_u32 v47, 6, v17 :: v_dual_add_nc_u32 v54, v5, v4
                                        ; implicit-def: $vgpr4_vgpr5
	v_cmpx_ne_u32_e32 0, v47
	s_xor_b32 s8, exec_lo, s8
; %bb.259:                              ;   in Loop: Header=BB4_129 Depth=3
	s_delay_alu instid0(VALU_DEP_2) | instskip(SKIP_1) | instid1(VALU_DEP_1)
	v_cmp_lt_u64_e32 vcc_lo, 0xffffff, v[54:55]
	v_add_nc_u32_e32 v4, 7, v17
	v_cndmask_b32_e32 v16, v47, v4, vcc_lo
	v_cndmask_b32_e64 v4, 0, 1, vcc_lo
	s_delay_alu instid0(VALU_DEP_1)
	v_lshrrev_b64 v[4:5], v4, v[54:55]
; %bb.260:                              ;   in Loop: Header=BB4_129 Depth=3
	s_and_not1_saveexec_b32 s8, s8
; %bb.261:                              ;   in Loop: Header=BB4_129 Depth=3
	v_mov_b64_e32 v[4:5], v[54:55]
	v_bfe_u32 v16, v54, 23, 1
; %bb.262:                              ;   in Loop: Header=BB4_129 Depth=3
	s_or_b32 exec_lo, exec_lo, s8
	s_delay_alu instid0(VALU_DEP_2) | instskip(NEXT) | instid1(VALU_DEP_2)
	v_lshrrev_b64 v[4:5], 20, v[4:5]
	v_cmp_gt_i32_e32 vcc_lo, 16, v16
	v_min_i32_e32 v17, 15, v16
	v_cmp_eq_u32_e64 s8, 0, v16
	s_delay_alu instid0(VALU_DEP_4) | instskip(NEXT) | instid1(VALU_DEP_3)
	v_cndmask_b32_e32 v5, 0, v5, vcc_lo
	v_dual_cndmask_b32 v4, 7, v4 :: v_dual_lshlrev_b32 v17, 3, v17
	s_delay_alu instid0(VALU_DEP_1) | instskip(NEXT) | instid1(VALU_DEP_2)
	v_and_b32_e32 v17, 0xf8, v17
	v_cmp_eq_u64_e32 vcc_lo, 0, v[4:5]
	s_delay_alu instid0(VALU_DEP_2)
	v_and_or_b32 v4, v4, 7, v17
	s_and_b32 s8, s8, vcc_lo
	s_delay_alu instid0(VALU_DEP_1) | instid1(SALU_CYCLE_1)
	v_cndmask_b32_e64 v4, v4, 0, s8
	s_delay_alu instid0(VALU_DEP_1)
	v_or_b32_e32 v47, v4, v74
.LBB4_263:                              ;   in Loop: Header=BB4_129 Depth=3
	s_or_b32 exec_lo, exec_lo, s21
                                        ; implicit-def: $vgpr74
.LBB4_264:                              ;   in Loop: Header=BB4_129 Depth=3
	s_and_not1_saveexec_b32 s8, s20
; %bb.265:                              ;   in Loop: Header=BB4_129 Depth=3
	v_or_b32_e32 v47, 0x7e, v74
; %bb.266:                              ;   in Loop: Header=BB4_129 Depth=3
	s_or_b32 exec_lo, exec_lo, s8
                                        ; implicit-def: $vgpr5
.LBB4_267:                              ;   in Loop: Header=BB4_129 Depth=3
	s_and_not1_saveexec_b32 s8, s19
; %bb.268:                              ;   in Loop: Header=BB4_129 Depth=3
	v_or_b32_e32 v47, 0x7f, v5
; %bb.269:                              ;   in Loop: Header=BB4_129 Depth=3
	s_or_b32 exec_lo, exec_lo, s8
	v_and_b32_e32 v16, 0xff, v18
	v_dual_mov_b32 v4, 0 :: v_dual_mov_b32 v5, 0
	s_mov_b32 s8, exec_lo
	s_delay_alu instid0(VALU_DEP_2)
	v_cmpx_ne_u16_e32 0, v16
	s_cbranch_execz .LBB4_275
; %bb.270:                              ;   in Loop: Header=BB4_129 Depth=3
	v_bfrev_b32_e32 v5, 1
	s_mov_b32 s19, exec_lo
	v_cmpx_ne_u16_e32 0x80, v16
	s_cbranch_execz .LBB4_274
; %bb.271:                              ;   in Loop: Header=BB4_129 Depth=3
	v_and_b32_e32 v16, 0x7f, v18
	v_mov_b32_e32 v5, 0x7f800001
	s_mov_b32 s20, exec_lo
	s_delay_alu instid0(VALU_DEP_2)
	v_cmpx_ne_u32_e32 0x7f, v16
	s_cbranch_execz .LBB4_273
; %bb.272:                              ;   in Loop: Header=BB4_129 Depth=3
	v_dual_lshrrev_b32 v17, 3, v16 :: v_dual_bitop2_b32 v5, 7, v18 bitop3:0x40
	v_cmp_gt_u32_e32 vcc_lo, 8, v16
	s_delay_alu instid0(VALU_DEP_2) | instskip(NEXT) | instid1(VALU_DEP_1)
	v_clz_i32_u32_e32 v5, v5
	v_min_u32_e32 v5, 32, v5
	s_delay_alu instid0(VALU_DEP_1) | instskip(NEXT) | instid1(VALU_DEP_1)
	v_subrev_nc_u32_e32 v54, 28, v5
	v_dual_cndmask_b32 v16, 0, v54 :: v_dual_sub_nc_u32 v5, 29, v5
	s_delay_alu instid0(VALU_DEP_1) | instskip(NEXT) | instid1(VALU_DEP_2)
	v_cndmask_b32_e32 v5, v17, v5, vcc_lo
	v_lshlrev_b64_e32 v[16:17], v16, v[18:19]
	v_lshlrev_b32_e32 v17, 24, v18
	s_delay_alu instid0(VALU_DEP_3) | instskip(NEXT) | instid1(VALU_DEP_2)
	v_lshl_add_u32 v5, v5, 23, 0x3c000000
	v_and_b32_e32 v17, 0x80000000, v17
	s_delay_alu instid0(VALU_DEP_4) | instskip(NEXT) | instid1(VALU_DEP_1)
	v_lshlrev_b32_e32 v16, 20, v16
	v_and_b32_e32 v16, 0x700000, v16
	s_delay_alu instid0(VALU_DEP_1)
	v_or3_b32 v5, v16, v17, v5
.LBB4_273:                              ;   in Loop: Header=BB4_129 Depth=3
	s_or_b32 exec_lo, exec_lo, s20
.LBB4_274:                              ;   in Loop: Header=BB4_129 Depth=3
	s_delay_alu instid0(SALU_CYCLE_1)
	s_or_b32 exec_lo, exec_lo, s19
.LBB4_275:                              ;   in Loop: Header=BB4_129 Depth=3
	s_delay_alu instid0(SALU_CYCLE_1) | instskip(SKIP_2) | instid1(VALU_DEP_1)
	s_or_b32 exec_lo, exec_lo, s8
	v_alignbit_b32 v54, v63, v72, v73
	s_mov_b32 s8, exec_lo
	v_and_b32_e32 v16, 0xff, v54
	s_delay_alu instid0(VALU_DEP_1)
	v_cmpx_ne_u16_e32 0, v16
	s_cbranch_execz .LBB4_281
; %bb.276:                              ;   in Loop: Header=BB4_129 Depth=3
	v_bfrev_b32_e32 v4, 1
	s_mov_b32 s19, exec_lo
	v_cmpx_ne_u16_e32 0x80, v16
	s_cbranch_execz .LBB4_280
; %bb.277:                              ;   in Loop: Header=BB4_129 Depth=3
	v_and_b32_e32 v16, 0x7f, v54
	v_mov_b32_e32 v4, 0x7f800001
	s_mov_b32 s20, exec_lo
	s_delay_alu instid0(VALU_DEP_2)
	v_cmpx_ne_u32_e32 0x7f, v16
	s_cbranch_execz .LBB4_279
; %bb.278:                              ;   in Loop: Header=BB4_129 Depth=3
	v_dual_lshrrev_b32 v17, 3, v16 :: v_dual_bitop2_b32 v4, 7, v54 bitop3:0x40
	v_cmp_gt_u32_e32 vcc_lo, 8, v16
	s_delay_alu instid0(VALU_DEP_2) | instskip(NEXT) | instid1(VALU_DEP_1)
	v_clz_i32_u32_e32 v4, v4
	v_min_u32_e32 v4, 32, v4
	s_delay_alu instid0(VALU_DEP_1) | instskip(NEXT) | instid1(VALU_DEP_1)
	v_subrev_nc_u32_e32 v19, 28, v4
	v_dual_sub_nc_u32 v4, 29, v4 :: v_dual_cndmask_b32 v16, 0, v19, vcc_lo
	s_delay_alu instid0(VALU_DEP_1) | instskip(NEXT) | instid1(VALU_DEP_2)
	v_cndmask_b32_e32 v4, v17, v4, vcc_lo
	v_lshlrev_b64_e32 v[16:17], v16, v[54:55]
	v_lshlrev_b32_e32 v17, 24, v54
	s_delay_alu instid0(VALU_DEP_3) | instskip(NEXT) | instid1(VALU_DEP_2)
	v_lshl_add_u32 v4, v4, 23, 0x3c000000
	v_and_b32_e32 v17, 0x80000000, v17
	s_delay_alu instid0(VALU_DEP_4) | instskip(NEXT) | instid1(VALU_DEP_1)
	v_lshlrev_b32_e32 v16, 20, v16
	v_and_b32_e32 v16, 0x700000, v16
	s_delay_alu instid0(VALU_DEP_1)
	v_or3_b32 v4, v16, v17, v4
.LBB4_279:                              ;   in Loop: Header=BB4_129 Depth=3
	s_or_b32 exec_lo, exec_lo, s20
.LBB4_280:                              ;   in Loop: Header=BB4_129 Depth=3
	s_delay_alu instid0(SALU_CYCLE_1)
	s_or_b32 exec_lo, exec_lo, s19
.LBB4_281:                              ;   in Loop: Header=BB4_129 Depth=3
	s_delay_alu instid0(SALU_CYCLE_1) | instskip(NEXT) | instid1(VALU_DEP_1)
	s_or_b32 exec_lo, exec_lo, s8
	v_dual_add_f32 v4, v5, v4 :: v_dual_mov_b32 v17, v55
                                        ; implicit-def: $vgpr19
	s_mov_b32 s8, exec_lo
	s_delay_alu instid0(VALU_DEP_1) | instskip(SKIP_1) | instid1(VALU_DEP_2)
	v_and_b32_e32 v16, 0x7f800000, v4
	v_lshrrev_b32_e32 v5, 24, v4
	v_cmpx_ne_u64_e32 0x7f800000, v[16:17]
	s_xor_b32 s19, exec_lo, s8
	s_cbranch_execz .LBB4_295
; %bb.282:                              ;   in Loop: Header=BB4_129 Depth=3
	v_and_b32_e32 v16, 0x7fffffff, v4
	v_mov_b32_e32 v17, v55
	v_and_b32_e32 v63, 0x80, v5
                                        ; implicit-def: $vgpr19
	s_mov_b32 s8, exec_lo
	s_delay_alu instid0(VALU_DEP_2)
	v_cmpx_gt_u64_e32 0x43e00001, v[16:17]
	s_xor_b32 s20, exec_lo, s8
	s_cbranch_execz .LBB4_292
; %bb.283:                              ;   in Loop: Header=BB4_129 Depth=3
	v_mov_b32_e32 v19, 0
	s_mov_b32 s21, exec_lo
	v_cmpx_ne_u32_e32 0, v4
	s_cbranch_execz .LBB4_291
; %bb.284:                              ;   in Loop: Header=BB4_129 Depth=3
	v_bfe_u32 v19, v4, 23, 8
	v_and_b32_e32 v16, 0x7fffff, v4
	s_mov_b32 s22, exec_lo
	s_delay_alu instid0(VALU_DEP_2) | instskip(NEXT) | instid1(VALU_DEP_2)
	v_cmp_gt_u32_e32 vcc_lo, 0x7a, v19
	v_or_b32_e32 v17, 0x800000, v16
	v_sub_nc_u32_e32 v5, 0x79, v19
	s_delay_alu instid0(VALU_DEP_1) | instskip(SKIP_1) | instid1(VALU_DEP_2)
	v_cndmask_b32_e32 v5, 0, v5, vcc_lo
	v_cmp_eq_u32_e32 vcc_lo, 0, v19
	v_cndmask_b32_e64 v72, v5, 0x78, vcc_lo
	v_dual_cndmask_b32 v16, v17, v16 :: v_dual_mov_b32 v17, v55
	s_delay_alu instid0(VALU_DEP_2) | instskip(NEXT) | instid1(VALU_DEP_1)
	v_dual_add_nc_u32 v73, 19, v72 :: v_dual_add_nc_u32 v4, 20, v72
	v_lshlrev_b64_e64 v[74:75], v73, 1
	s_delay_alu instid0(VALU_DEP_2) | instskip(NEXT) | instid1(VALU_DEP_1)
	v_lshlrev_b64_e64 v[4:5], v4, -1
	v_bfi_b32 v77, v5, 0, 0
	s_delay_alu instid0(VALU_DEP_2) | instskip(SKIP_1) | instid1(VALU_DEP_1)
	v_bfi_b32 v76, v4, 0, v16
	v_lshrrev_b64 v[4:5], v72, v[16:17]
	v_mov_b64_e32 v[16:17], v[4:5]
	s_delay_alu instid0(VALU_DEP_3)
	v_cmpx_eq_u64_e64 v[76:77], v[74:75]
; %bb.285:                              ;   in Loop: Header=BB4_129 Depth=3
	v_bfe_u32 v16, v4, 20, 1
	v_mov_b32_e32 v17, v55
	s_delay_alu instid0(VALU_DEP_1) | instskip(NEXT) | instid1(VALU_DEP_1)
	v_add_nc_u64_e32 v[16:17], v[4:5], v[16:17]
	v_add_nc_u64_e32 v[16:17], -1, v[16:17]
; %bb.286:                              ;   in Loop: Header=BB4_129 Depth=3
	s_or_b32 exec_lo, exec_lo, s22
	v_add_nc_u32_e32 v5, 0xffffff81, v19
	v_lshrrev_b32_e32 v17, 23, v4
	s_mov_b32 s8, exec_lo
	s_delay_alu instid0(VALU_DEP_2) | instskip(NEXT) | instid1(VALU_DEP_1)
	v_cndmask_b32_e64 v5, v5, 0xffffff82, vcc_lo
	v_add3_u32 v17, v72, v5, v17
	v_and_b32_e32 v5, 0xfffff, v16
                                        ; implicit-def: $vgpr16
	s_delay_alu instid0(VALU_DEP_1) | instskip(SKIP_1) | instid1(VALU_DEP_2)
	v_dual_add_nc_u32 v19, 6, v17 :: v_dual_add_nc_u32 v4, v5, v4
	v_mov_b32_e32 v5, v55
	v_cmpx_ne_u32_e32 0, v19
	s_xor_b32 s8, exec_lo, s8
; %bb.287:                              ;   in Loop: Header=BB4_129 Depth=3
	s_delay_alu instid0(VALU_DEP_2) | instskip(SKIP_2) | instid1(VALU_DEP_2)
	v_cmp_lt_u64_e32 vcc_lo, 0xffffff, v[4:5]
	v_add_nc_u32_e32 v16, 7, v17
	v_cndmask_b32_e64 v17, 0, 1, vcc_lo
	v_cndmask_b32_e32 v16, v19, v16, vcc_lo
	s_delay_alu instid0(VALU_DEP_2)
	v_lshrrev_b64 v[4:5], v17, v[4:5]
; %bb.288:                              ;   in Loop: Header=BB4_129 Depth=3
	s_and_not1_saveexec_b32 s8, s8
; %bb.289:                              ;   in Loop: Header=BB4_129 Depth=3
	s_delay_alu instid0(VALU_DEP_1)
	v_bfe_u32 v16, v4, 23, 1
; %bb.290:                              ;   in Loop: Header=BB4_129 Depth=3
	s_or_b32 exec_lo, exec_lo, s8
	s_delay_alu instid0(VALU_DEP_2) | instskip(NEXT) | instid1(VALU_DEP_2)
	v_lshrrev_b64 v[4:5], 20, v[4:5]
	v_cmp_gt_i32_e32 vcc_lo, 16, v16
	v_min_i32_e32 v17, 15, v16
	v_cmp_eq_u32_e64 s8, 0, v16
	s_delay_alu instid0(VALU_DEP_4) | instskip(NEXT) | instid1(VALU_DEP_3)
	v_cndmask_b32_e32 v5, 0, v5, vcc_lo
	v_dual_cndmask_b32 v4, 7, v4 :: v_dual_lshlrev_b32 v17, 3, v17
	s_delay_alu instid0(VALU_DEP_1) | instskip(NEXT) | instid1(VALU_DEP_2)
	v_and_b32_e32 v17, 0xf8, v17
	v_cmp_eq_u64_e32 vcc_lo, 0, v[4:5]
	s_delay_alu instid0(VALU_DEP_2)
	v_and_or_b32 v4, v4, 7, v17
	s_and_b32 s8, s8, vcc_lo
	s_delay_alu instid0(VALU_DEP_1) | instid1(SALU_CYCLE_1)
	v_cndmask_b32_e64 v4, v4, 0, s8
	s_delay_alu instid0(VALU_DEP_1)
	v_or_b32_e32 v19, v4, v63
.LBB4_291:                              ;   in Loop: Header=BB4_129 Depth=3
	s_or_b32 exec_lo, exec_lo, s21
                                        ; implicit-def: $vgpr63
.LBB4_292:                              ;   in Loop: Header=BB4_129 Depth=3
	s_and_not1_saveexec_b32 s8, s20
; %bb.293:                              ;   in Loop: Header=BB4_129 Depth=3
	v_or_b32_e32 v19, 0x7e, v63
; %bb.294:                              ;   in Loop: Header=BB4_129 Depth=3
	s_or_b32 exec_lo, exec_lo, s8
                                        ; implicit-def: $vgpr5
.LBB4_295:                              ;   in Loop: Header=BB4_129 Depth=3
	s_and_not1_saveexec_b32 s8, s19
; %bb.296:                              ;   in Loop: Header=BB4_129 Depth=3
	v_or_b32_e32 v19, 0x7f, v5
; %bb.297:                              ;   in Loop: Header=BB4_129 Depth=3
	s_or_b32 exec_lo, exec_lo, s8
	v_lshrrev_b16 v4, 8, v18
	v_dual_mov_b32 v16, 0 :: v_dual_mov_b32 v17, 0
	s_mov_b32 s8, exec_lo
	s_delay_alu instid0(VALU_DEP_2)
	v_cmpx_ne_u16_e32 0, v4
	s_cbranch_execz .LBB4_305
; %bb.298:                              ;   in Loop: Header=BB4_129 Depth=3
	v_bfrev_b32_e32 v17, 1
	s_mov_b32 s19, exec_lo
	v_cmpx_ne_u16_e32 0x80, v4
	s_cbranch_execz .LBB4_304
; %bb.299:                              ;   in Loop: Header=BB4_129 Depth=3
	v_and_b32_e32 v4, 0xffff, v4
	v_mov_b32_e32 v17, 0x7f800001
	s_mov_b32 s20, exec_lo
	s_delay_alu instid0(VALU_DEP_2) | instskip(NEXT) | instid1(VALU_DEP_1)
	v_and_b32_e32 v63, 0x7f, v4
	v_cmpx_ne_u32_e32 0x7f, v63
	s_cbranch_execz .LBB4_303
; %bb.300:                              ;   in Loop: Header=BB4_129 Depth=3
	v_dual_mov_b32 v5, v55 :: v_dual_bitop2_b32 v4, 7, v4 bitop3:0x40
	v_lshrrev_b32_e32 v17, 3, v63
	s_mov_b32 s21, exec_lo
	v_cmpx_gt_u32_e32 8, v63
; %bb.301:                              ;   in Loop: Header=BB4_129 Depth=3
	s_delay_alu instid0(VALU_DEP_3) | instskip(NEXT) | instid1(VALU_DEP_1)
	v_clz_i32_u32_e32 v17, v4
	v_min_u32_e32 v17, 32, v17
	s_delay_alu instid0(VALU_DEP_1) | instskip(NEXT) | instid1(VALU_DEP_1)
	v_subrev_nc_u32_e32 v63, 28, v17
	v_lshlrev_b64_e32 v[4:5], v63, v[4:5]
	s_delay_alu instid0(VALU_DEP_1)
	v_dual_sub_nc_u32 v17, 29, v17 :: v_dual_bitop2_b32 v4, 7, v4 bitop3:0x40
; %bb.302:                              ;   in Loop: Header=BB4_129 Depth=3
	s_or_b32 exec_lo, exec_lo, s21
	s_delay_alu instid0(VALU_DEP_1) | instskip(NEXT) | instid1(VALU_DEP_2)
	v_dual_lshlrev_b32 v5, 16, v18 :: v_dual_lshlrev_b32 v4, 20, v4
	v_lshl_add_u32 v17, v17, 23, 0x3c000000
	s_delay_alu instid0(VALU_DEP_2) | instskip(NEXT) | instid1(VALU_DEP_1)
	v_and_b32_e32 v5, 0x80000000, v5
	v_or3_b32 v17, v4, v5, v17
.LBB4_303:                              ;   in Loop: Header=BB4_129 Depth=3
	s_or_b32 exec_lo, exec_lo, s20
.LBB4_304:                              ;   in Loop: Header=BB4_129 Depth=3
	s_delay_alu instid0(SALU_CYCLE_1)
	s_or_b32 exec_lo, exec_lo, s19
.LBB4_305:                              ;   in Loop: Header=BB4_129 Depth=3
	s_delay_alu instid0(SALU_CYCLE_1) | instskip(SKIP_2) | instid1(VALU_DEP_1)
	s_or_b32 exec_lo, exec_lo, s8
	v_lshrrev_b16 v4, 8, v54
	s_mov_b32 s8, exec_lo
	v_cmpx_ne_u16_e32 0, v4
	s_cbranch_execz .LBB4_313
; %bb.306:                              ;   in Loop: Header=BB4_129 Depth=3
	v_bfrev_b32_e32 v16, 1
	s_mov_b32 s19, exec_lo
	v_cmpx_ne_u16_e32 0x80, v4
	s_cbranch_execz .LBB4_312
; %bb.307:                              ;   in Loop: Header=BB4_129 Depth=3
	v_and_b32_e32 v4, 0xffff, v4
	v_mov_b32_e32 v16, 0x7f800001
	s_mov_b32 s20, exec_lo
	s_delay_alu instid0(VALU_DEP_2) | instskip(NEXT) | instid1(VALU_DEP_1)
	v_and_b32_e32 v63, 0x7f, v4
	v_cmpx_ne_u32_e32 0x7f, v63
	s_cbranch_execz .LBB4_311
; %bb.308:                              ;   in Loop: Header=BB4_129 Depth=3
	v_dual_mov_b32 v5, v55 :: v_dual_bitop2_b32 v4, 7, v4 bitop3:0x40
	v_lshrrev_b32_e32 v16, 3, v63
	s_mov_b32 s21, exec_lo
	v_cmpx_gt_u32_e32 8, v63
; %bb.309:                              ;   in Loop: Header=BB4_129 Depth=3
	s_delay_alu instid0(VALU_DEP_3) | instskip(NEXT) | instid1(VALU_DEP_1)
	v_clz_i32_u32_e32 v16, v4
	v_min_u32_e32 v16, 32, v16
	s_delay_alu instid0(VALU_DEP_1) | instskip(SKIP_1) | instid1(VALU_DEP_2)
	v_subrev_nc_u32_e32 v63, 28, v16
	v_sub_nc_u32_e32 v16, 29, v16
	v_lshlrev_b64_e32 v[4:5], v63, v[4:5]
	s_delay_alu instid0(VALU_DEP_1)
	v_and_b32_e32 v4, 7, v4
; %bb.310:                              ;   in Loop: Header=BB4_129 Depth=3
	s_or_b32 exec_lo, exec_lo, s21
	s_delay_alu instid0(VALU_DEP_1) | instskip(SKIP_1) | instid1(VALU_DEP_2)
	v_dual_lshlrev_b32 v5, 16, v54 :: v_dual_lshlrev_b32 v4, 20, v4
	v_lshl_add_u32 v16, v16, 23, 0x3c000000
	v_and_b32_e32 v5, 0x80000000, v5
	s_delay_alu instid0(VALU_DEP_1)
	v_or3_b32 v16, v4, v5, v16
.LBB4_311:                              ;   in Loop: Header=BB4_129 Depth=3
	s_or_b32 exec_lo, exec_lo, s20
.LBB4_312:                              ;   in Loop: Header=BB4_129 Depth=3
	s_delay_alu instid0(SALU_CYCLE_1)
	s_or_b32 exec_lo, exec_lo, s19
.LBB4_313:                              ;   in Loop: Header=BB4_129 Depth=3
	s_delay_alu instid0(SALU_CYCLE_1) | instskip(NEXT) | instid1(VALU_DEP_1)
	s_or_b32 exec_lo, exec_lo, s8
	v_dual_add_f32 v4, v17, v16 :: v_dual_mov_b32 v17, v55
                                        ; implicit-def: $vgpr63
	s_mov_b32 s8, exec_lo
	s_delay_alu instid0(VALU_DEP_1) | instskip(SKIP_1) | instid1(VALU_DEP_2)
	v_and_b32_e32 v16, 0x7f800000, v4
	v_lshrrev_b32_e32 v5, 24, v4
	v_cmpx_ne_u64_e32 0x7f800000, v[16:17]
	s_xor_b32 s19, exec_lo, s8
	s_cbranch_execz .LBB4_327
; %bb.314:                              ;   in Loop: Header=BB4_129 Depth=3
	v_and_b32_e32 v16, 0x7fffffff, v4
	v_mov_b32_e32 v17, v55
	v_and_b32_e32 v72, 0x80, v5
                                        ; implicit-def: $vgpr63
	s_mov_b32 s8, exec_lo
	s_delay_alu instid0(VALU_DEP_2)
	v_cmpx_gt_u64_e32 0x43e00001, v[16:17]
	s_xor_b32 s20, exec_lo, s8
	s_cbranch_execz .LBB4_324
; %bb.315:                              ;   in Loop: Header=BB4_129 Depth=3
	v_mov_b32_e32 v63, 0
	s_mov_b32 s21, exec_lo
	v_cmpx_ne_u32_e32 0, v4
	s_cbranch_execz .LBB4_323
; %bb.316:                              ;   in Loop: Header=BB4_129 Depth=3
	v_bfe_u32 v63, v4, 23, 8
	v_and_b32_e32 v16, 0x7fffff, v4
	s_mov_b32 s22, exec_lo
	s_delay_alu instid0(VALU_DEP_2) | instskip(NEXT) | instid1(VALU_DEP_2)
	v_cmp_gt_u32_e32 vcc_lo, 0x7a, v63
	v_or_b32_e32 v17, 0x800000, v16
	v_sub_nc_u32_e32 v5, 0x79, v63
	s_delay_alu instid0(VALU_DEP_1) | instskip(SKIP_1) | instid1(VALU_DEP_4)
	v_cndmask_b32_e32 v5, 0, v5, vcc_lo
	v_cmp_eq_u32_e32 vcc_lo, 0, v63
	v_dual_cndmask_b32 v16, v17, v16 :: v_dual_mov_b32 v17, v55
	s_delay_alu instid0(VALU_DEP_3) | instskip(NEXT) | instid1(VALU_DEP_1)
	v_cndmask_b32_e64 v73, v5, 0x78, vcc_lo
	v_dual_add_nc_u32 v4, 20, v73 :: v_dual_add_nc_u32 v74, 19, v73
	s_delay_alu instid0(VALU_DEP_1) | instskip(NEXT) | instid1(VALU_DEP_2)
	v_lshlrev_b64_e64 v[4:5], v4, -1
	v_lshlrev_b64_e64 v[74:75], v74, 1
	s_delay_alu instid0(VALU_DEP_2) | instskip(NEXT) | instid1(VALU_DEP_3)
	v_bfi_b32 v77, v5, 0, 0
	v_bfi_b32 v76, v4, 0, v16
	v_lshrrev_b64 v[4:5], v73, v[16:17]
	s_delay_alu instid0(VALU_DEP_1) | instskip(NEXT) | instid1(VALU_DEP_3)
	v_mov_b64_e32 v[16:17], v[4:5]
	v_cmpx_eq_u64_e64 v[76:77], v[74:75]
; %bb.317:                              ;   in Loop: Header=BB4_129 Depth=3
	v_bfe_u32 v16, v4, 20, 1
	v_mov_b32_e32 v17, v55
	s_delay_alu instid0(VALU_DEP_1) | instskip(NEXT) | instid1(VALU_DEP_1)
	v_add_nc_u64_e32 v[16:17], v[4:5], v[16:17]
	v_add_nc_u64_e32 v[16:17], -1, v[16:17]
; %bb.318:                              ;   in Loop: Header=BB4_129 Depth=3
	s_or_b32 exec_lo, exec_lo, s22
	v_add_nc_u32_e32 v5, 0xffffff81, v63
	v_lshrrev_b32_e32 v17, 23, v4
	s_mov_b32 s8, exec_lo
	s_delay_alu instid0(VALU_DEP_2) | instskip(NEXT) | instid1(VALU_DEP_1)
	v_cndmask_b32_e64 v5, v5, 0xffffff82, vcc_lo
	v_add3_u32 v17, v73, v5, v17
	v_and_b32_e32 v5, 0xfffff, v16
                                        ; implicit-def: $vgpr16
	s_delay_alu instid0(VALU_DEP_1) | instskip(SKIP_1) | instid1(VALU_DEP_2)
	v_dual_add_nc_u32 v63, 6, v17 :: v_dual_add_nc_u32 v4, v5, v4
	v_mov_b32_e32 v5, v55
	v_cmpx_ne_u32_e32 0, v63
	s_xor_b32 s8, exec_lo, s8
; %bb.319:                              ;   in Loop: Header=BB4_129 Depth=3
	s_delay_alu instid0(VALU_DEP_2) | instskip(SKIP_2) | instid1(VALU_DEP_2)
	v_cmp_lt_u64_e32 vcc_lo, 0xffffff, v[4:5]
	v_add_nc_u32_e32 v16, 7, v17
	v_cndmask_b32_e64 v17, 0, 1, vcc_lo
	v_cndmask_b32_e32 v16, v63, v16, vcc_lo
	s_delay_alu instid0(VALU_DEP_2)
	v_lshrrev_b64 v[4:5], v17, v[4:5]
; %bb.320:                              ;   in Loop: Header=BB4_129 Depth=3
	s_and_not1_saveexec_b32 s8, s8
; %bb.321:                              ;   in Loop: Header=BB4_129 Depth=3
	s_delay_alu instid0(VALU_DEP_1)
	v_bfe_u32 v16, v4, 23, 1
; %bb.322:                              ;   in Loop: Header=BB4_129 Depth=3
	s_or_b32 exec_lo, exec_lo, s8
	s_delay_alu instid0(VALU_DEP_2) | instskip(NEXT) | instid1(VALU_DEP_2)
	v_lshrrev_b64 v[4:5], 20, v[4:5]
	v_cmp_gt_i32_e32 vcc_lo, 16, v16
	v_min_i32_e32 v17, 15, v16
	v_cmp_eq_u32_e64 s8, 0, v16
	s_delay_alu instid0(VALU_DEP_4) | instskip(NEXT) | instid1(VALU_DEP_3)
	v_cndmask_b32_e32 v5, 0, v5, vcc_lo
	v_dual_cndmask_b32 v4, 7, v4 :: v_dual_lshlrev_b32 v17, 3, v17
	s_delay_alu instid0(VALU_DEP_1) | instskip(NEXT) | instid1(VALU_DEP_2)
	v_and_b32_e32 v17, 0xf8, v17
	v_cmp_eq_u64_e32 vcc_lo, 0, v[4:5]
	s_delay_alu instid0(VALU_DEP_2)
	v_and_or_b32 v4, v4, 7, v17
	s_and_b32 s8, s8, vcc_lo
	s_delay_alu instid0(VALU_DEP_1) | instid1(SALU_CYCLE_1)
	v_cndmask_b32_e64 v4, v4, 0, s8
	s_delay_alu instid0(VALU_DEP_1)
	v_or_b32_e32 v63, v4, v72
.LBB4_323:                              ;   in Loop: Header=BB4_129 Depth=3
	s_or_b32 exec_lo, exec_lo, s21
                                        ; implicit-def: $vgpr72
.LBB4_324:                              ;   in Loop: Header=BB4_129 Depth=3
	s_and_not1_saveexec_b32 s8, s20
; %bb.325:                              ;   in Loop: Header=BB4_129 Depth=3
	v_or_b32_e32 v63, 0x7e, v72
; %bb.326:                              ;   in Loop: Header=BB4_129 Depth=3
	s_or_b32 exec_lo, exec_lo, s8
                                        ; implicit-def: $vgpr5
.LBB4_327:                              ;   in Loop: Header=BB4_129 Depth=3
	s_and_not1_saveexec_b32 s8, s19
; %bb.328:                              ;   in Loop: Header=BB4_129 Depth=3
	v_or_b32_e32 v63, 0x7f, v5
; %bb.329:                              ;   in Loop: Header=BB4_129 Depth=3
	s_or_b32 exec_lo, exec_lo, s8
	v_dual_lshrrev_b32 v72, 16, v18 :: v_dual_mov_b32 v16, 0
	v_mov_b32_e32 v17, 0
	s_mov_b32 s8, exec_lo
	s_delay_alu instid0(VALU_DEP_2) | instskip(NEXT) | instid1(VALU_DEP_1)
	v_and_b32_e32 v4, 0xff, v72
	v_cmpx_ne_u16_e32 0, v4
	s_cbranch_execz .LBB4_337
; %bb.330:                              ;   in Loop: Header=BB4_129 Depth=3
	v_bfrev_b32_e32 v17, 1
	s_mov_b32 s19, exec_lo
	v_cmpx_ne_u16_e32 0x80, v4
	s_cbranch_execz .LBB4_336
; %bb.331:                              ;   in Loop: Header=BB4_129 Depth=3
	v_bfe_u32 v73, v18, 16, 7
	v_mov_b32_e32 v17, 0x7f800001
	s_mov_b32 s20, exec_lo
	s_delay_alu instid0(VALU_DEP_2)
	v_cmpx_ne_u32_e32 0x7f, v73
	s_cbranch_execz .LBB4_335
; %bb.332:                              ;   in Loop: Header=BB4_129 Depth=3
	v_dual_mov_b32 v5, v55 :: v_dual_bitop2_b32 v4, 7, v72 bitop3:0x40
	v_lshrrev_b32_e32 v17, 3, v73
	s_mov_b32 s21, exec_lo
	v_cmpx_gt_u32_e32 8, v73
; %bb.333:                              ;   in Loop: Header=BB4_129 Depth=3
	s_delay_alu instid0(VALU_DEP_3) | instskip(NEXT) | instid1(VALU_DEP_1)
	v_clz_i32_u32_e32 v17, v4
	v_min_u32_e32 v17, 32, v17
	s_delay_alu instid0(VALU_DEP_1) | instskip(NEXT) | instid1(VALU_DEP_1)
	v_subrev_nc_u32_e32 v73, 28, v17
	v_lshlrev_b64_e32 v[4:5], v73, v[4:5]
	s_delay_alu instid0(VALU_DEP_1)
	v_dual_sub_nc_u32 v17, 29, v17 :: v_dual_bitop2_b32 v4, 7, v4 bitop3:0x40
; %bb.334:                              ;   in Loop: Header=BB4_129 Depth=3
	s_or_b32 exec_lo, exec_lo, s21
	v_lshlrev_b32_e32 v5, 24, v72
	s_delay_alu instid0(VALU_DEP_2) | instskip(NEXT) | instid1(VALU_DEP_3)
	v_lshlrev_b32_e32 v4, 20, v4
	v_lshl_add_u32 v17, v17, 23, 0x3c000000
	s_delay_alu instid0(VALU_DEP_3) | instskip(NEXT) | instid1(VALU_DEP_1)
	v_and_b32_e32 v5, 0x80000000, v5
	v_or3_b32 v17, v4, v5, v17
.LBB4_335:                              ;   in Loop: Header=BB4_129 Depth=3
	s_or_b32 exec_lo, exec_lo, s20
.LBB4_336:                              ;   in Loop: Header=BB4_129 Depth=3
	s_delay_alu instid0(SALU_CYCLE_1)
	s_or_b32 exec_lo, exec_lo, s19
.LBB4_337:                              ;   in Loop: Header=BB4_129 Depth=3
	s_delay_alu instid0(SALU_CYCLE_1) | instskip(SKIP_2) | instid1(VALU_DEP_1)
	s_or_b32 exec_lo, exec_lo, s8
	v_lshrrev_b32_e32 v4, 16, v54
	s_mov_b32 s8, exec_lo
	v_and_b32_e32 v5, 0xff, v4
	s_delay_alu instid0(VALU_DEP_1)
	v_cmpx_ne_u16_e32 0, v5
	s_cbranch_execz .LBB4_345
; %bb.338:                              ;   in Loop: Header=BB4_129 Depth=3
	v_bfrev_b32_e32 v16, 1
	s_mov_b32 s19, exec_lo
	v_cmpx_ne_u16_e32 0x80, v5
	s_cbranch_execz .LBB4_344
; %bb.339:                              ;   in Loop: Header=BB4_129 Depth=3
	v_bfe_u32 v72, v54, 16, 7
	v_mov_b32_e32 v16, 0x7f800001
	s_mov_b32 s20, exec_lo
	s_delay_alu instid0(VALU_DEP_2)
	v_cmpx_ne_u32_e32 0x7f, v72
	s_cbranch_execz .LBB4_343
; %bb.340:                              ;   in Loop: Header=BB4_129 Depth=3
	v_dual_mov_b32 v5, v55 :: v_dual_bitop2_b32 v4, 7, v4 bitop3:0x40
	v_lshrrev_b32_e32 v16, 3, v72
	s_mov_b32 s21, exec_lo
	v_cmpx_gt_u32_e32 8, v72
; %bb.341:                              ;   in Loop: Header=BB4_129 Depth=3
	s_delay_alu instid0(VALU_DEP_3) | instskip(NEXT) | instid1(VALU_DEP_1)
	v_clz_i32_u32_e32 v16, v4
	v_min_u32_e32 v16, 32, v16
	s_delay_alu instid0(VALU_DEP_1) | instskip(SKIP_1) | instid1(VALU_DEP_2)
	v_subrev_nc_u32_e32 v72, 28, v16
	v_sub_nc_u32_e32 v16, 29, v16
	v_lshlrev_b64_e32 v[4:5], v72, v[4:5]
	s_delay_alu instid0(VALU_DEP_1)
	v_and_b32_e32 v4, 7, v4
; %bb.342:                              ;   in Loop: Header=BB4_129 Depth=3
	s_or_b32 exec_lo, exec_lo, s21
	s_delay_alu instid0(VALU_DEP_1) | instskip(SKIP_1) | instid1(VALU_DEP_2)
	v_dual_lshlrev_b32 v5, 8, v54 :: v_dual_lshlrev_b32 v4, 20, v4
	v_lshl_add_u32 v16, v16, 23, 0x3c000000
	v_and_b32_e32 v5, 0x80000000, v5
	s_delay_alu instid0(VALU_DEP_1)
	v_or3_b32 v16, v4, v5, v16
.LBB4_343:                              ;   in Loop: Header=BB4_129 Depth=3
	s_or_b32 exec_lo, exec_lo, s20
.LBB4_344:                              ;   in Loop: Header=BB4_129 Depth=3
	s_delay_alu instid0(SALU_CYCLE_1)
	s_or_b32 exec_lo, exec_lo, s19
.LBB4_345:                              ;   in Loop: Header=BB4_129 Depth=3
	s_delay_alu instid0(SALU_CYCLE_1) | instskip(NEXT) | instid1(VALU_DEP_1)
	s_or_b32 exec_lo, exec_lo, s8
	v_dual_add_f32 v4, v17, v16 :: v_dual_mov_b32 v17, v55
                                        ; implicit-def: $vgpr72
	s_mov_b32 s8, exec_lo
	s_delay_alu instid0(VALU_DEP_1) | instskip(SKIP_1) | instid1(VALU_DEP_2)
	v_and_b32_e32 v16, 0x7f800000, v4
	v_lshrrev_b32_e32 v5, 24, v4
	v_cmpx_ne_u64_e32 0x7f800000, v[16:17]
	s_xor_b32 s19, exec_lo, s8
	s_cbranch_execz .LBB4_359
; %bb.346:                              ;   in Loop: Header=BB4_129 Depth=3
	v_and_b32_e32 v16, 0x7fffffff, v4
	v_mov_b32_e32 v17, v55
	v_and_b32_e32 v73, 0x80, v5
                                        ; implicit-def: $vgpr72
	s_mov_b32 s8, exec_lo
	s_delay_alu instid0(VALU_DEP_2)
	v_cmpx_gt_u64_e32 0x43e00001, v[16:17]
	s_xor_b32 s20, exec_lo, s8
	s_cbranch_execz .LBB4_356
; %bb.347:                              ;   in Loop: Header=BB4_129 Depth=3
	v_mov_b32_e32 v72, 0
	s_mov_b32 s21, exec_lo
	v_cmpx_ne_u32_e32 0, v4
	s_cbranch_execz .LBB4_355
; %bb.348:                              ;   in Loop: Header=BB4_129 Depth=3
	v_bfe_u32 v72, v4, 23, 8
	v_and_b32_e32 v16, 0x7fffff, v4
	s_mov_b32 s22, exec_lo
	s_delay_alu instid0(VALU_DEP_2) | instskip(SKIP_1) | instid1(VALU_DEP_3)
	v_sub_nc_u32_e32 v5, 0x79, v72
	v_cmp_gt_u32_e32 vcc_lo, 0x7a, v72
	v_or_b32_e32 v17, 0x800000, v16
	s_delay_alu instid0(VALU_DEP_3) | instskip(SKIP_1) | instid1(VALU_DEP_2)
	v_cndmask_b32_e32 v5, 0, v5, vcc_lo
	v_cmp_eq_u32_e32 vcc_lo, 0, v72
	v_cndmask_b32_e64 v74, v5, 0x78, vcc_lo
	s_delay_alu instid0(VALU_DEP_4) | instskip(NEXT) | instid1(VALU_DEP_2)
	v_dual_cndmask_b32 v16, v17, v16 :: v_dual_mov_b32 v17, v55
	v_dual_add_nc_u32 v4, 20, v74 :: v_dual_add_nc_u32 v75, 19, v74
	s_delay_alu instid0(VALU_DEP_1) | instskip(NEXT) | instid1(VALU_DEP_2)
	v_lshlrev_b64_e64 v[4:5], v4, -1
	v_lshlrev_b64_e64 v[76:77], v75, 1
	s_delay_alu instid0(VALU_DEP_2) | instskip(NEXT) | instid1(VALU_DEP_3)
	v_bfi_b32 v79, v5, 0, 0
	v_bfi_b32 v78, v4, 0, v16
	v_lshrrev_b64 v[4:5], v74, v[16:17]
	s_delay_alu instid0(VALU_DEP_1) | instskip(NEXT) | instid1(VALU_DEP_3)
	v_mov_b64_e32 v[16:17], v[4:5]
	v_cmpx_eq_u64_e64 v[78:79], v[76:77]
; %bb.349:                              ;   in Loop: Header=BB4_129 Depth=3
	v_bfe_u32 v16, v4, 20, 1
	v_mov_b32_e32 v17, v55
	s_delay_alu instid0(VALU_DEP_1) | instskip(NEXT) | instid1(VALU_DEP_1)
	v_add_nc_u64_e32 v[16:17], v[4:5], v[16:17]
	v_add_nc_u64_e32 v[16:17], -1, v[16:17]
; %bb.350:                              ;   in Loop: Header=BB4_129 Depth=3
	s_or_b32 exec_lo, exec_lo, s22
	v_add_nc_u32_e32 v5, 0xffffff81, v72
	v_lshrrev_b32_e32 v17, 23, v4
	s_mov_b32 s8, exec_lo
	s_delay_alu instid0(VALU_DEP_2) | instskip(NEXT) | instid1(VALU_DEP_1)
	v_cndmask_b32_e64 v5, v5, 0xffffff82, vcc_lo
	v_add3_u32 v17, v74, v5, v17
	v_and_b32_e32 v5, 0xfffff, v16
                                        ; implicit-def: $vgpr16
	s_delay_alu instid0(VALU_DEP_1) | instskip(SKIP_1) | instid1(VALU_DEP_2)
	v_dual_add_nc_u32 v72, 6, v17 :: v_dual_add_nc_u32 v4, v5, v4
	v_mov_b32_e32 v5, v55
	v_cmpx_ne_u32_e32 0, v72
	s_xor_b32 s8, exec_lo, s8
; %bb.351:                              ;   in Loop: Header=BB4_129 Depth=3
	s_delay_alu instid0(VALU_DEP_2) | instskip(SKIP_2) | instid1(VALU_DEP_2)
	v_cmp_lt_u64_e32 vcc_lo, 0xffffff, v[4:5]
	v_add_nc_u32_e32 v16, 7, v17
	v_cndmask_b32_e64 v17, 0, 1, vcc_lo
	v_cndmask_b32_e32 v16, v72, v16, vcc_lo
	s_delay_alu instid0(VALU_DEP_2)
	v_lshrrev_b64 v[4:5], v17, v[4:5]
; %bb.352:                              ;   in Loop: Header=BB4_129 Depth=3
	s_and_not1_saveexec_b32 s8, s8
; %bb.353:                              ;   in Loop: Header=BB4_129 Depth=3
	s_delay_alu instid0(VALU_DEP_1)
	v_bfe_u32 v16, v4, 23, 1
; %bb.354:                              ;   in Loop: Header=BB4_129 Depth=3
	s_or_b32 exec_lo, exec_lo, s8
	s_delay_alu instid0(VALU_DEP_2) | instskip(NEXT) | instid1(VALU_DEP_2)
	v_lshrrev_b64 v[4:5], 20, v[4:5]
	v_cmp_gt_i32_e32 vcc_lo, 16, v16
	v_min_i32_e32 v17, 15, v16
	v_cmp_eq_u32_e64 s8, 0, v16
	s_delay_alu instid0(VALU_DEP_4) | instskip(NEXT) | instid1(VALU_DEP_3)
	v_cndmask_b32_e32 v5, 0, v5, vcc_lo
	v_dual_cndmask_b32 v4, 7, v4 :: v_dual_lshlrev_b32 v17, 3, v17
	s_delay_alu instid0(VALU_DEP_1) | instskip(NEXT) | instid1(VALU_DEP_2)
	v_and_b32_e32 v17, 0xf8, v17
	v_cmp_eq_u64_e32 vcc_lo, 0, v[4:5]
	s_delay_alu instid0(VALU_DEP_2)
	v_and_or_b32 v4, v4, 7, v17
	s_and_b32 s8, s8, vcc_lo
	s_delay_alu instid0(VALU_DEP_1) | instid1(SALU_CYCLE_1)
	v_cndmask_b32_e64 v4, v4, 0, s8
	s_delay_alu instid0(VALU_DEP_1)
	v_or_b32_e32 v72, v4, v73
.LBB4_355:                              ;   in Loop: Header=BB4_129 Depth=3
	s_or_b32 exec_lo, exec_lo, s21
                                        ; implicit-def: $vgpr73
.LBB4_356:                              ;   in Loop: Header=BB4_129 Depth=3
	s_and_not1_saveexec_b32 s8, s20
; %bb.357:                              ;   in Loop: Header=BB4_129 Depth=3
	v_or_b32_e32 v72, 0x7e, v73
; %bb.358:                              ;   in Loop: Header=BB4_129 Depth=3
	s_or_b32 exec_lo, exec_lo, s8
                                        ; implicit-def: $vgpr5
.LBB4_359:                              ;   in Loop: Header=BB4_129 Depth=3
	s_and_not1_saveexec_b32 s8, s19
; %bb.360:                              ;   in Loop: Header=BB4_129 Depth=3
	v_or_b32_e32 v72, 0x7f, v5
; %bb.361:                              ;   in Loop: Header=BB4_129 Depth=3
	s_or_b32 exec_lo, exec_lo, s8
	v_and_b32_e32 v4, 0xff000000, v18
	v_dual_mov_b32 v5, v55 :: v_dual_mov_b32 v16, 0
	s_delay_alu instid0(VALU_DEP_1)
	v_cmp_ne_u64_e32 vcc_lo, 0, v[4:5]
	v_mov_b32_e32 v4, 0
	s_and_saveexec_b32 s8, vcc_lo
	s_cbranch_execz .LBB4_369
; %bb.362:                              ;   in Loop: Header=BB4_129 Depth=3
	v_lshrrev_b32_e32 v17, 24, v18
	v_bfrev_b32_e32 v4, 1
	s_mov_b32 s19, exec_lo
	s_delay_alu instid0(VALU_DEP_2)
	v_cmpx_ne_u32_e32 0x80, v17
	s_cbranch_execz .LBB4_368
; %bb.363:                              ;   in Loop: Header=BB4_129 Depth=3
	v_bfe_u32 v73, v18, 24, 7
	v_mov_b32_e32 v4, 0x7f800001
	s_mov_b32 s20, exec_lo
	s_delay_alu instid0(VALU_DEP_2)
	v_cmpx_ne_u32_e32 0x7f, v73
	s_cbranch_execz .LBB4_367
; %bb.364:                              ;   in Loop: Header=BB4_129 Depth=3
	v_dual_mov_b32 v5, v55 :: v_dual_bitop2_b32 v4, 7, v17 bitop3:0x40
	v_lshrrev_b32_e32 v18, 3, v73
	s_mov_b32 s21, exec_lo
	v_cmpx_gt_u32_e32 8, v73
; %bb.365:                              ;   in Loop: Header=BB4_129 Depth=3
	s_delay_alu instid0(VALU_DEP_3) | instskip(NEXT) | instid1(VALU_DEP_1)
	v_clz_i32_u32_e32 v18, v4
	v_min_u32_e32 v18, 32, v18
	s_delay_alu instid0(VALU_DEP_1) | instskip(NEXT) | instid1(VALU_DEP_1)
	v_subrev_nc_u32_e32 v73, 28, v18
	v_lshlrev_b64_e32 v[4:5], v73, v[4:5]
	s_delay_alu instid0(VALU_DEP_1)
	v_dual_sub_nc_u32 v18, 29, v18 :: v_dual_bitop2_b32 v4, 7, v4 bitop3:0x40
; %bb.366:                              ;   in Loop: Header=BB4_129 Depth=3
	s_or_b32 exec_lo, exec_lo, s21
	s_delay_alu instid0(VALU_DEP_1) | instskip(NEXT) | instid1(VALU_DEP_2)
	v_dual_lshlrev_b32 v5, 24, v17 :: v_dual_lshlrev_b32 v4, 20, v4
	v_lshl_add_u32 v17, v18, 23, 0x3c000000
	s_delay_alu instid0(VALU_DEP_2) | instskip(NEXT) | instid1(VALU_DEP_1)
	v_and_b32_e32 v5, 0x80000000, v5
	v_or3_b32 v4, v4, v5, v17
.LBB4_367:                              ;   in Loop: Header=BB4_129 Depth=3
	s_or_b32 exec_lo, exec_lo, s20
.LBB4_368:                              ;   in Loop: Header=BB4_129 Depth=3
	s_delay_alu instid0(SALU_CYCLE_1)
	s_or_b32 exec_lo, exec_lo, s19
.LBB4_369:                              ;   in Loop: Header=BB4_129 Depth=3
	s_delay_alu instid0(SALU_CYCLE_1) | instskip(NEXT) | instid1(SALU_CYCLE_1)
	s_or_b32 exec_lo, exec_lo, s8
	s_mov_b32 s8, exec_lo
	v_cmpx_lt_u32_e32 0xffffff, v54
	s_cbranch_execz .LBB4_377
; %bb.370:                              ;   in Loop: Header=BB4_129 Depth=3
	v_lshrrev_b32_e32 v5, 24, v54
	v_bfrev_b32_e32 v16, 1
	s_mov_b32 s19, exec_lo
	s_delay_alu instid0(VALU_DEP_2)
	v_cmpx_ne_u32_e32 0x80, v5
	s_cbranch_execz .LBB4_376
; %bb.371:                              ;   in Loop: Header=BB4_129 Depth=3
	v_bfe_u32 v17, v54, 24, 7
	v_mov_b32_e32 v16, 0x7f800001
	s_mov_b32 s20, exec_lo
	s_delay_alu instid0(VALU_DEP_2)
	v_cmpx_ne_u32_e32 0x7f, v17
	s_cbranch_execz .LBB4_375
; %bb.372:                              ;   in Loop: Header=BB4_129 Depth=3
	v_and_b32_e32 v54, 7, v5
	v_lshrrev_b32_e32 v16, 3, v17
	s_mov_b32 s21, exec_lo
	v_cmpx_gt_u32_e32 8, v17
; %bb.373:                              ;   in Loop: Header=BB4_129 Depth=3
	s_delay_alu instid0(VALU_DEP_3) | instskip(NEXT) | instid1(VALU_DEP_1)
	v_clz_i32_u32_e32 v16, v54
	v_min_u32_e32 v16, 32, v16
	s_delay_alu instid0(VALU_DEP_1) | instskip(NEXT) | instid1(VALU_DEP_1)
	v_subrev_nc_u32_e32 v17, 28, v16
	v_lshlrev_b64_e32 v[74:75], v17, v[54:55]
	s_delay_alu instid0(VALU_DEP_1)
	v_dual_sub_nc_u32 v16, 29, v16 :: v_dual_bitop2_b32 v54, 7, v74 bitop3:0x40
; %bb.374:                              ;   in Loop: Header=BB4_129 Depth=3
	s_or_b32 exec_lo, exec_lo, s21
	s_delay_alu instid0(VALU_DEP_1) | instskip(NEXT) | instid1(VALU_DEP_2)
	v_dual_lshlrev_b32 v5, 24, v5 :: v_dual_lshlrev_b32 v17, 20, v54
	v_lshl_add_u32 v16, v16, 23, 0x3c000000
	s_delay_alu instid0(VALU_DEP_2) | instskip(NEXT) | instid1(VALU_DEP_1)
	v_and_b32_e32 v5, 0x80000000, v5
	v_or3_b32 v16, v17, v5, v16
.LBB4_375:                              ;   in Loop: Header=BB4_129 Depth=3
	s_or_b32 exec_lo, exec_lo, s20
.LBB4_376:                              ;   in Loop: Header=BB4_129 Depth=3
	s_delay_alu instid0(SALU_CYCLE_1)
	s_or_b32 exec_lo, exec_lo, s19
.LBB4_377:                              ;   in Loop: Header=BB4_129 Depth=3
	s_delay_alu instid0(SALU_CYCLE_1) | instskip(NEXT) | instid1(VALU_DEP_1)
	s_or_b32 exec_lo, exec_lo, s8
	v_add_f32_e32 v5, v4, v16
                                        ; implicit-def: $vgpr4
	s_mov_b32 s8, exec_lo
	s_delay_alu instid0(VALU_DEP_1) | instskip(SKIP_1) | instid1(VALU_DEP_2)
	v_and_b32_e32 v54, 0x7f800000, v5
	v_lshrrev_b32_e32 v16, 24, v5
	v_cmpx_ne_u64_e32 0x7f800000, v[54:55]
	s_xor_b32 s19, exec_lo, s8
	s_cbranch_execz .LBB4_391
; %bb.378:                              ;   in Loop: Header=BB4_129 Depth=3
	v_and_b32_e32 v54, 0x7fffffff, v5
	v_and_b32_e32 v18, 0x80, v16
                                        ; implicit-def: $vgpr4
	s_mov_b32 s8, exec_lo
	s_delay_alu instid0(VALU_DEP_2)
	v_cmpx_gt_u64_e32 0x43e00001, v[54:55]
	s_xor_b32 s20, exec_lo, s8
	s_cbranch_execz .LBB4_388
; %bb.379:                              ;   in Loop: Header=BB4_129 Depth=3
	v_mov_b32_e32 v4, 0
	s_mov_b32 s21, exec_lo
	v_cmpx_ne_u32_e32 0, v5
	s_cbranch_execz .LBB4_387
; %bb.380:                              ;   in Loop: Header=BB4_129 Depth=3
	v_bfe_u32 v73, v5, 23, 8
	v_and_b32_e32 v16, 0x7fffff, v5
	s_delay_alu instid0(VALU_DEP_2) | instskip(SKIP_1) | instid1(VALU_DEP_3)
	v_sub_nc_u32_e32 v4, 0x79, v73
	v_cmp_gt_u32_e32 vcc_lo, 0x7a, v73
	v_or_b32_e32 v17, 0x800000, v16
	s_delay_alu instid0(VALU_DEP_3) | instskip(SKIP_1) | instid1(VALU_DEP_2)
	v_cndmask_b32_e32 v4, 0, v4, vcc_lo
	v_cmp_eq_u32_e32 vcc_lo, 0, v73
	v_cndmask_b32_e64 v74, v4, 0x78, vcc_lo
	s_delay_alu instid0(VALU_DEP_1) | instskip(SKIP_1) | instid1(VALU_DEP_2)
	v_dual_cndmask_b32 v54, v17, v16, vcc_lo :: v_dual_add_nc_u32 v4, 20, v74
	v_add_nc_u32_e32 v75, 19, v74
	v_lshlrev_b64_e64 v[4:5], v4, -1
	s_delay_alu instid0(VALU_DEP_2) | instskip(NEXT) | instid1(VALU_DEP_2)
	v_lshlrev_b64_e64 v[16:17], v75, 1
	v_bfi_b32 v77, v5, 0, 0
	s_delay_alu instid0(VALU_DEP_3) | instskip(SKIP_1) | instid1(VALU_DEP_2)
	v_bfi_b32 v76, v4, 0, v54
	v_lshrrev_b64 v[4:5], v74, v[54:55]
	v_cmp_eq_u64_e64 s8, v[76:77], v[16:17]
	s_delay_alu instid0(VALU_DEP_2)
	v_mov_b64_e32 v[16:17], v[4:5]
	s_and_saveexec_b32 s22, s8
; %bb.381:                              ;   in Loop: Header=BB4_129 Depth=3
	v_bfe_u32 v54, v4, 20, 1
	s_delay_alu instid0(VALU_DEP_1) | instskip(NEXT) | instid1(VALU_DEP_1)
	v_add_nc_u64_e32 v[16:17], v[4:5], v[54:55]
	v_add_nc_u64_e32 v[16:17], -1, v[16:17]
; %bb.382:                              ;   in Loop: Header=BB4_129 Depth=3
	s_or_b32 exec_lo, exec_lo, s22
	v_add_nc_u32_e32 v5, 0xffffff81, v73
	v_lshrrev_b32_e32 v17, 23, v4
	s_mov_b32 s8, exec_lo
	s_delay_alu instid0(VALU_DEP_2) | instskip(NEXT) | instid1(VALU_DEP_1)
	v_cndmask_b32_e64 v5, v5, 0xffffff82, vcc_lo
	v_add3_u32 v17, v74, v5, v17
	v_and_b32_e32 v5, 0xfffff, v16
                                        ; implicit-def: $vgpr16
	s_delay_alu instid0(VALU_DEP_1) | instskip(NEXT) | instid1(VALU_DEP_1)
	v_dual_add_nc_u32 v73, 6, v17 :: v_dual_add_nc_u32 v54, v5, v4
                                        ; implicit-def: $vgpr4_vgpr5
	v_cmpx_ne_u32_e32 0, v73
	s_xor_b32 s8, exec_lo, s8
; %bb.383:                              ;   in Loop: Header=BB4_129 Depth=3
	s_delay_alu instid0(VALU_DEP_2) | instskip(SKIP_1) | instid1(VALU_DEP_1)
	v_cmp_lt_u64_e32 vcc_lo, 0xffffff, v[54:55]
	v_add_nc_u32_e32 v4, 7, v17
	v_cndmask_b32_e32 v16, v73, v4, vcc_lo
	v_cndmask_b32_e64 v4, 0, 1, vcc_lo
	s_delay_alu instid0(VALU_DEP_1)
	v_lshrrev_b64 v[4:5], v4, v[54:55]
; %bb.384:                              ;   in Loop: Header=BB4_129 Depth=3
	s_and_not1_saveexec_b32 s8, s8
; %bb.385:                              ;   in Loop: Header=BB4_129 Depth=3
	v_mov_b64_e32 v[4:5], v[54:55]
	v_bfe_u32 v16, v54, 23, 1
; %bb.386:                              ;   in Loop: Header=BB4_129 Depth=3
	s_or_b32 exec_lo, exec_lo, s8
	s_delay_alu instid0(VALU_DEP_2) | instskip(NEXT) | instid1(VALU_DEP_2)
	v_lshrrev_b64 v[4:5], 20, v[4:5]
	v_cmp_gt_i32_e32 vcc_lo, 16, v16
	v_min_i32_e32 v17, 15, v16
	v_cmp_eq_u32_e64 s8, 0, v16
	s_delay_alu instid0(VALU_DEP_4) | instskip(NEXT) | instid1(VALU_DEP_3)
	v_cndmask_b32_e32 v5, 0, v5, vcc_lo
	v_dual_cndmask_b32 v4, 7, v4 :: v_dual_lshlrev_b32 v17, 3, v17
	s_delay_alu instid0(VALU_DEP_1) | instskip(NEXT) | instid1(VALU_DEP_2)
	v_and_b32_e32 v17, 0xf8, v17
	v_cmp_eq_u64_e32 vcc_lo, 0, v[4:5]
	s_delay_alu instid0(VALU_DEP_2)
	v_and_or_b32 v4, v4, 7, v17
	s_and_b32 s8, s8, vcc_lo
	s_delay_alu instid0(VALU_DEP_1) | instid1(SALU_CYCLE_1)
	v_cndmask_b32_e64 v4, v4, 0, s8
	s_delay_alu instid0(VALU_DEP_1)
	v_or_b32_e32 v4, v4, v18
.LBB4_387:                              ;   in Loop: Header=BB4_129 Depth=3
	s_or_b32 exec_lo, exec_lo, s21
                                        ; implicit-def: $vgpr18
.LBB4_388:                              ;   in Loop: Header=BB4_129 Depth=3
	s_and_not1_saveexec_b32 s8, s20
; %bb.389:                              ;   in Loop: Header=BB4_129 Depth=3
	v_or_b32_e32 v4, 0x7e, v18
; %bb.390:                              ;   in Loop: Header=BB4_129 Depth=3
	s_or_b32 exec_lo, exec_lo, s8
                                        ; implicit-def: $vgpr16
.LBB4_391:                              ;   in Loop: Header=BB4_129 Depth=3
	s_and_not1_saveexec_b32 s8, s19
	s_cbranch_execz .LBB4_128
; %bb.392:                              ;   in Loop: Header=BB4_129 Depth=3
	v_or_b32_e32 v4, 0x7f, v16
	s_branch .LBB4_128
.LBB4_393:                              ;   in Loop: Header=BB4_85 Depth=2
	s_or_b32 exec_lo, exec_lo, s18
	s_delay_alu instid0(SALU_CYCLE_1)
	s_or_b32 exec_lo, exec_lo, s17
	s_and_saveexec_b32 s8, s3
	s_cbranch_execz .LBB4_122
.LBB4_394:                              ;   in Loop: Header=BB4_85 Depth=2
	s_and_saveexec_b32 s17, s4
	s_delay_alu instid0(SALU_CYCLE_1)
	s_xor_b32 s17, exec_lo, s17
	s_cbranch_execz .LBB4_409
; %bb.395:                              ;   in Loop: Header=BB4_85 Depth=2
	s_and_saveexec_b32 s18, s5
	s_cbranch_execz .LBB4_408
; %bb.396:                              ;   in Loop: Header=BB4_85 Depth=2
	s_mov_b32 s20, exec_lo
	s_mov_b32 s19, exec_lo
	v_mbcnt_lo_u32_b32 v2, s20, 0
	global_wb scope:SCOPE_DEV
	s_wait_storecnt 0x0
	s_wait_loadcnt_dscnt 0x0
	global_inv scope:SCOPE_DEV
	v_cmpx_eq_u32_e32 0, v2
	s_cbranch_execz .LBB4_398
; %bb.397:                              ;   in Loop: Header=BB4_85 Depth=2
	s_bcnt1_i32_b32 s20, s20
	s_delay_alu instid0(SALU_CYCLE_1)
	v_mov_b32_e32 v54, s20
	s_wait_loadcnt 0x0
	ds_add_u64 v0, v[54:55]
	s_trap 2
.LBB4_398:                              ;   in Loop: Header=BB4_85 Depth=2
	s_or_b32 exec_lo, exec_lo, s19
	s_trap 2
	ds_load_b64 v[4:5], v0
	s_wait_dscnt 0x0
	v_add_nc_u64_e32 v[52:53], v[52:53], v[84:85]
	s_mov_b32 s19, exec_lo
	s_delay_alu instid0(VALU_DEP_1)
	v_cmpx_lt_u64_e64 v[4:5], v[52:53]
	s_cbranch_execz .LBB4_407
; %bb.399:                              ;   in Loop: Header=BB4_85 Depth=2
	s_mov_b32 s20, 0
	s_mov_b32 s23, 0
                                        ; implicit-def: $sgpr21
                                        ; implicit-def: $sgpr22
	s_branch .LBB4_401
.LBB4_400:                              ;   in Loop: Header=BB4_401 Depth=3
	s_or_b32 exec_lo, exec_lo, s25
	s_delay_alu instid0(SALU_CYCLE_1) | instskip(NEXT) | instid1(SALU_CYCLE_1)
	s_and_b32 s24, exec_lo, s26
	s_or_b32 s20, s24, s20
	s_and_not1_b32 s21, s21, exec_lo
	s_and_b32 s24, s22, exec_lo
	s_delay_alu instid0(SALU_CYCLE_1)
	s_or_b32 s21, s21, s24
	s_and_not1_b32 exec_lo, exec_lo, s20
	s_cbranch_execz .LBB4_405
.LBB4_401:                              ;   Parent Loop BB4_36 Depth=1
                                        ;     Parent Loop BB4_85 Depth=2
                                        ; =>    This Inner Loop Header: Depth=3
	s_add_co_i32 s23, s23, 1
	s_delay_alu instid0(SALU_CYCLE_1) | instskip(SKIP_1) | instid1(SALU_CYCLE_1)
	s_cmp_lg_u32 s23, 0x2710
	s_cselect_b32 s24, -1, 0
	s_and_b32 vcc_lo, exec_lo, s24
	s_cbranch_vccz .LBB4_403
; %bb.402:                              ;   in Loop: Header=BB4_401 Depth=3
	s_mov_b32 s26, -1
	s_or_b32 s22, s22, exec_lo
	s_and_saveexec_b32 s25, s24
	s_cbranch_execz .LBB4_400
	s_branch .LBB4_404
.LBB4_403:                              ;   in Loop: Header=BB4_401 Depth=3
	s_trap 2
	ds_load_b64 v[4:5], v0
	s_and_not1_b32 s24, s24, exec_lo
	s_mov_b32 s23, 0
	s_wait_loadcnt_dscnt 0x0
	flat_load_b32 v2, v[4:5] scope:SCOPE_SYS
	s_wait_loadcnt_dscnt 0x0
	global_inv scope:SCOPE_SYS
	v_cmp_eq_u32_e32 vcc_lo, 0, v2
	s_and_b32 s25, vcc_lo, exec_lo
	s_delay_alu instid0(SALU_CYCLE_1)
	s_or_b32 s24, s24, s25
	s_mov_b32 s26, -1
	s_or_b32 s22, s22, exec_lo
	s_and_saveexec_b32 s25, s24
	s_cbranch_execz .LBB4_400
.LBB4_404:                              ;   in Loop: Header=BB4_401 Depth=3
	s_sleep 1
	s_trap 2
	ds_load_b64 v[4:5], v0
	s_wait_dscnt 0x0
	s_and_not1_b32 s22, s22, exec_lo
	v_cmp_ge_u64_e32 vcc_lo, v[4:5], v[52:53]
	s_or_not1_b32 s26, vcc_lo, exec_lo
	s_branch .LBB4_400
.LBB4_405:                              ;   in Loop: Header=BB4_85 Depth=2
	s_or_b32 exec_lo, exec_lo, s20
	s_and_saveexec_b32 s20, s21
	s_delay_alu instid0(SALU_CYCLE_1)
	s_xor_b32 s20, exec_lo, s20
	s_cbranch_execz .LBB4_407
; %bb.406:                              ;   in Loop: Header=BB4_85 Depth=2
	ds_store_b32 v0, v1
	s_trap 2
.LBB4_407:                              ;   in Loop: Header=BB4_85 Depth=2
	s_or_b32 exec_lo, exec_lo, s19
	;;#ASMSTART
	s_wakeup
	;;#ASMEND
.LBB4_408:                              ;   in Loop: Header=BB4_85 Depth=2
	s_or_b32 exec_lo, exec_lo, s18
.LBB4_409:                              ;   in Loop: Header=BB4_85 Depth=2
	s_and_not1_saveexec_b32 s17, s17
	s_cbranch_execz .LBB4_411
; %bb.410:                              ;   in Loop: Header=BB4_85 Depth=2
	global_wb scope:SCOPE_DEV
	s_wait_storecnt 0x0
	s_wait_loadcnt_dscnt 0x0
	global_inv scope:SCOPE_DEV
	s_barrier_signal -1
	s_barrier_wait -1
.LBB4_411:                              ;   in Loop: Header=BB4_85 Depth=2
	s_or_b32 exec_lo, exec_lo, s17
	s_delay_alu instid0(SALU_CYCLE_1)
	s_or_b32 exec_lo, exec_lo, s8
	s_and_saveexec_b32 s8, s6
	s_cbranch_execnz .LBB4_123
	s_branch .LBB4_124
.LBB4_412:                              ;   in Loop: Header=BB4_36 Depth=1
	s_delay_alu instid0(VALU_DEP_1)
	v_mov_b64_e32 v[16:17], v[114:115]
	s_and_saveexec_b32 s8, s7
	s_cbranch_execnz .LBB4_415
; %bb.413:                              ;   in Loop: Header=BB4_36 Depth=1
	s_or_b32 exec_lo, exec_lo, s8
	s_and_saveexec_b32 s7, s3
	s_cbranch_execnz .LBB4_700
.LBB4_414:                              ;   in Loop: Header=BB4_36 Depth=1
	s_or_b32 exec_lo, exec_lo, s7
	s_and_saveexec_b32 s7, s6
	s_cbranch_execz .LBB4_35
	s_branch .LBB4_718
.LBB4_415:                              ;   in Loop: Header=BB4_36 Depth=1
	s_wait_loadcnt_dscnt 0x0
	flat_load_b32 v4, v[22:23]
	v_add_nc_u64_e32 v[2:3], v[10:11], v[112:113]
	v_dual_mov_b32 v116, v0 :: v_dual_bitop2_b32 v5, 7, v34 bitop3:0x40
	s_mov_b32 s16, 0
	v_add_nc_u32_e32 v42, 1, v34
	s_wait_loadcnt_dscnt 0x0
	s_delay_alu instid0(VALU_DEP_3) | instskip(SKIP_1) | instid1(VALU_DEP_2)
	v_mad_nc_u64_u32 v[2:3], v68, v4, v[2:3]
	v_ashrrev_i32_e32 v18, 31, v4
	v_mad_u32 v3, v69, v4, v3
	v_mul_lo_u32 v4, v5, s13
	s_delay_alu instid0(VALU_DEP_2) | instskip(NEXT) | instid1(VALU_DEP_2)
	v_mad_u32 v3, v68, v18, v3
	v_ashrrev_i32_e32 v5, 31, v4
	v_add_nc_u64_e32 v[18:19], v[8:9], v[112:113]
	s_delay_alu instid0(VALU_DEP_2) | instskip(NEXT) | instid1(VALU_DEP_4)
	v_lshl_add_u64 v[114:115], v[4:5], 4, v[32:33]
	v_add_nc_u64_e32 v[112:113], v[2:3], v[82:83]
	s_branch .LBB4_417
.LBB4_416:                              ;   in Loop: Header=BB4_417 Depth=2
	v_dual_sub_nc_u32 v57, v57, v86 :: v_dual_add_nc_u32 v116, v116, v20
	v_add_nc_u64_e32 v[112:113], v[112:113], v[86:87]
	s_wait_xcnt 0x0
	v_add_nc_u64_e32 v[18:19], v[18:19], v[86:87]
	s_delay_alu instid0(VALU_DEP_3) | instskip(SKIP_1) | instid1(SALU_CYCLE_1)
	v_cmp_gt_i32_e32 vcc_lo, 1, v57
	s_or_b32 s16, vcc_lo, s16
	s_and_not1_b32 exec_lo, exec_lo, s16
	s_cbranch_execz .LBB4_699
.LBB4_417:                              ;   Parent Loop BB4_36 Depth=1
                                        ; =>  This Loop Header: Depth=2
                                        ;       Child Loop BB4_425 Depth 3
	s_delay_alu instid0(VALU_DEP_1)
	v_dual_mov_b32 v3, v113 :: v_dual_bitop2_b32 v2, -4, v112 bitop3:0x40
	v_min_u32_e32 v4, 8, v57
	v_dual_mov_b32 v44, 0 :: v_dual_bitop2_b32 v5, 3, v112 bitop3:0x40
	v_mov_b32_e32 v45, 0
	global_load_b32 v40, v[2:3], off th:TH_LOAD_NT
	s_mov_b32 s7, exec_lo
	v_add_nc_u32_e32 v54, v5, v4
	s_wait_xcnt 0x0
	s_delay_alu instid0(VALU_DEP_1)
	v_cmpx_lt_u32_e32 4, v54
	s_cbranch_execz .LBB4_419
; %bb.418:                              ;   in Loop: Header=BB4_417 Depth=2
	global_load_b32 v45, v[2:3], off offset:4 th:TH_LOAD_NT
.LBB4_419:                              ;   in Loop: Header=BB4_417 Depth=2
	s_wait_xcnt 0x0
	s_or_b32 exec_lo, exec_lo, s7
	s_delay_alu instid0(SALU_CYCLE_1)
	s_mov_b32 s7, exec_lo
	v_cmpx_lt_u64_e32 8, v[54:55]
	s_cbranch_execz .LBB4_421
; %bb.420:                              ;   in Loop: Header=BB4_417 Depth=2
	global_load_b32 v44, v[2:3], off offset:8 th:TH_LOAD_NT
.LBB4_421:                              ;   in Loop: Header=BB4_417 Depth=2
	s_wait_xcnt 0x0
	s_or_b32 exec_lo, exec_lo, s7
	v_ashrrev_i32_e32 v117, 31, v116
	s_mov_b32 s17, exec_lo
	s_delay_alu instid0(VALU_DEP_1)
	v_lshl_add_u64 v[118:119], v[116:117], 4, v[114:115]
	global_load_b128 v[2:5], v[118:119], off th:TH_LOAD_NT
	s_wait_xcnt 0x0
	v_cmpx_eq_u32_e32 0, v21
	s_cbranch_execz .LBB4_433
; %bb.422:                              ;   in Loop: Header=BB4_417 Depth=2
	s_wait_loadcnt 0x0
	v_cmp_ne_u32_e32 vcc_lo, v42, v3
	v_cmp_ne_u32_e64 s7, v42, v5
	v_mov_b32_e32 v21, 0
	s_or_b32 s7, vcc_lo, s7
	s_delay_alu instid0(SALU_CYCLE_1)
	s_and_saveexec_b32 s18, s7
	s_cbranch_execz .LBB4_432
; %bb.423:                              ;   in Loop: Header=BB4_417 Depth=2
	s_mov_b32 s22, 1
	s_mov_b32 s20, 0
                                        ; implicit-def: $sgpr19
                                        ; implicit-def: $sgpr21
	s_branch .LBB4_425
.LBB4_424:                              ;   in Loop: Header=BB4_425 Depth=3
	s_or_b32 exec_lo, exec_lo, s24
	s_delay_alu instid0(SALU_CYCLE_1) | instskip(NEXT) | instid1(SALU_CYCLE_1)
	s_and_b32 s7, exec_lo, s7
	s_or_b32 s20, s7, s20
	s_and_not1_b32 s7, s19, exec_lo
	s_and_b32 s19, s21, exec_lo
	s_delay_alu instid0(SALU_CYCLE_1)
	s_or_b32 s19, s7, s19
	s_and_not1_b32 exec_lo, exec_lo, s20
	s_cbranch_execz .LBB4_429
.LBB4_425:                              ;   Parent Loop BB4_36 Depth=1
                                        ;     Parent Loop BB4_417 Depth=2
                                        ; =>    This Inner Loop Header: Depth=3
	s_wait_loadcnt 0x0
	global_load_b128 v[2:5], v[118:119], off th:TH_LOAD_NT
	s_add_co_i32 s22, s22, 1
	s_mov_b32 s7, -1
	s_cmp_lg_u32 s22, 0x2710
	s_mov_b32 s23, -1
                                        ; implicit-def: $vgpr54
	s_cbranch_scc0 .LBB4_427
; %bb.426:                              ;   in Loop: Header=BB4_425 Depth=3
	s_or_b32 s21, s21, exec_lo
	s_wait_xcnt 0x0
	s_and_saveexec_b32 s24, s23
	s_cbranch_execz .LBB4_424
	s_branch .LBB4_428
.LBB4_427:                              ;   in Loop: Header=BB4_425 Depth=3
	s_trap 2
	ds_load_b64 v[46:47], v0
	s_mov_b32 s22, 0
	s_wait_storecnt 0x0
	s_wait_loadcnt_dscnt 0x0
	flat_load_b32 v54, v[46:47] scope:SCOPE_SYS
	s_wait_loadcnt_dscnt 0x0
	global_inv scope:SCOPE_SYS
	v_cmp_eq_u32_e32 vcc_lo, 0, v54
	s_or_not1_b32 s23, vcc_lo, exec_lo
	s_or_b32 s21, s21, exec_lo
	s_wait_xcnt 0x0
	s_and_saveexec_b32 s24, s23
	s_cbranch_execz .LBB4_424
.LBB4_428:                              ;   in Loop: Header=BB4_425 Depth=3
	s_wait_loadcnt 0x0
	v_cmp_eq_u32_e32 vcc_lo, v42, v3
	v_cmp_eq_u32_e64 s7, v42, v5
	s_and_not1_b32 s21, s21, exec_lo
	s_and_b32 s7, vcc_lo, s7
	s_delay_alu instid0(SALU_CYCLE_1)
	s_or_not1_b32 s7, s7, exec_lo
	s_branch .LBB4_424
.LBB4_429:                              ;   in Loop: Header=BB4_417 Depth=2
	s_or_b32 exec_lo, exec_lo, s20
	v_mov_b32_e32 v21, 0
	s_and_saveexec_b32 s7, s19
	s_delay_alu instid0(SALU_CYCLE_1)
	s_xor_b32 s7, exec_lo, s7
	s_cbranch_execz .LBB4_431
; %bb.430:                              ;   in Loop: Header=BB4_417 Depth=2
	v_mov_b32_e32 v21, 1
	s_wait_loadcnt 0x0
	s_wait_storecnt 0x0
	ds_store_b32 v0, v54
	s_trap 2
.LBB4_431:                              ;   in Loop: Header=BB4_417 Depth=2
	s_or_b32 exec_lo, exec_lo, s7
.LBB4_432:                              ;   in Loop: Header=BB4_417 Depth=2
	s_delay_alu instid0(SALU_CYCLE_1)
	s_or_b32 exec_lo, exec_lo, s18
.LBB4_433:                              ;   in Loop: Header=BB4_417 Depth=2
	s_delay_alu instid0(SALU_CYCLE_1) | instskip(SKIP_4) | instid1(VALU_DEP_2)
	s_or_b32 exec_lo, exec_lo, s17
	s_wait_loadcnt 0x0
	v_and_b32_e32 v54, 0xff, v2
	v_dual_mov_b32 v117, 0 :: v_dual_mov_b32 v118, 0
	s_mov_b32 s7, exec_lo
	v_cmpx_ne_u16_e32 0, v54
	s_cbranch_execz .LBB4_439
; %bb.434:                              ;   in Loop: Header=BB4_417 Depth=2
	v_bfrev_b32_e32 v118, 1
	s_mov_b32 s17, exec_lo
	v_cmpx_ne_u16_e32 0x80, v54
	s_cbranch_execz .LBB4_438
; %bb.435:                              ;   in Loop: Header=BB4_417 Depth=2
	v_and_b32_e32 v54, 0x7f, v2
	v_mov_b32_e32 v118, 0x7f800001
	s_mov_b32 s18, exec_lo
	s_delay_alu instid0(VALU_DEP_2)
	v_cmpx_ne_u32_e32 0x7f, v54
	s_cbranch_execz .LBB4_437
; %bb.436:                              ;   in Loop: Header=BB4_417 Depth=2
	v_and_b32_e32 v118, 7, v2
	v_cmp_gt_u32_e32 vcc_lo, 8, v54
	s_delay_alu instid0(VALU_DEP_2) | instskip(NEXT) | instid1(VALU_DEP_1)
	v_clz_i32_u32_e32 v118, v118
	v_min_u32_e32 v118, 32, v118
	s_delay_alu instid0(VALU_DEP_1) | instskip(SKIP_2) | instid1(VALU_DEP_1)
	v_subrev_nc_u32_e32 v41, 28, v118
	v_lshrrev_b32_e32 v119, 3, v54
	v_sub_nc_u32_e32 v118, 29, v118
	v_dual_cndmask_b32 v54, v119, v118, vcc_lo :: v_dual_cndmask_b32 v118, 0, v41, vcc_lo
	s_delay_alu instid0(VALU_DEP_1) | instskip(SKIP_1) | instid1(VALU_DEP_1)
	v_lshlrev_b64_e32 v[118:119], v118, v[2:3]
	v_lshlrev_b32_e32 v3, 24, v2
	v_and_b32_e32 v3, 0x80000000, v3
	s_delay_alu instid0(VALU_DEP_3) | instskip(SKIP_1) | instid1(VALU_DEP_2)
	v_lshlrev_b32_e32 v118, 20, v118
	v_lshl_add_u32 v54, v54, 23, 0x3c000000
	v_and_b32_e32 v118, 0x700000, v118
	s_delay_alu instid0(VALU_DEP_1)
	v_or3_b32 v118, v118, v3, v54
.LBB4_437:                              ;   in Loop: Header=BB4_417 Depth=2
	s_or_b32 exec_lo, exec_lo, s18
.LBB4_438:                              ;   in Loop: Header=BB4_417 Depth=2
	s_delay_alu instid0(SALU_CYCLE_1)
	s_or_b32 exec_lo, exec_lo, s17
.LBB4_439:                              ;   in Loop: Header=BB4_417 Depth=2
	s_delay_alu instid0(SALU_CYCLE_1) | instskip(SKIP_2) | instid1(VALU_DEP_1)
	s_or_b32 exec_lo, exec_lo, s7
	v_lshlrev_b32_e32 v46, 3, v112
	s_mov_b32 s7, exec_lo
	v_alignbit_b32 v54, v45, v40, v46
	s_delay_alu instid0(VALU_DEP_1) | instskip(NEXT) | instid1(VALU_DEP_1)
	v_and_b32_e32 v3, 0xff, v54
	v_cmpx_ne_u16_e32 0, v3
	s_cbranch_execz .LBB4_445
; %bb.440:                              ;   in Loop: Header=BB4_417 Depth=2
	v_bfrev_b32_e32 v117, 1
	s_mov_b32 s17, exec_lo
	v_cmpx_ne_u16_e32 0x80, v3
	s_cbranch_execz .LBB4_444
; %bb.441:                              ;   in Loop: Header=BB4_417 Depth=2
	v_and_b32_e32 v3, 0x7f, v54
	v_mov_b32_e32 v117, 0x7f800001
	s_mov_b32 s18, exec_lo
	s_delay_alu instid0(VALU_DEP_2)
	v_cmpx_ne_u32_e32 0x7f, v3
	s_cbranch_execz .LBB4_443
; %bb.442:                              ;   in Loop: Header=BB4_417 Depth=2
	v_dual_lshrrev_b32 v119, 3, v3 :: v_dual_bitop2_b32 v117, 7, v54 bitop3:0x40
	v_cmp_gt_u32_e32 vcc_lo, 8, v3
	s_delay_alu instid0(VALU_DEP_2) | instskip(NEXT) | instid1(VALU_DEP_1)
	v_clz_i32_u32_e32 v117, v117
	v_min_u32_e32 v117, 32, v117
	s_delay_alu instid0(VALU_DEP_1) | instskip(SKIP_1) | instid1(VALU_DEP_1)
	v_subrev_nc_u32_e32 v40, 28, v117
	v_sub_nc_u32_e32 v117, 29, v117
	v_dual_cndmask_b32 v3, v119, v117, vcc_lo :: v_dual_cndmask_b32 v117, 0, v40, vcc_lo
	s_delay_alu instid0(VALU_DEP_1) | instskip(NEXT) | instid1(VALU_DEP_2)
	v_lshl_add_u32 v3, v3, 23, 0x3c000000
	v_lshlrev_b64_e32 v[40:41], v117, v[54:55]
	v_lshlrev_b32_e32 v117, 24, v54
	s_delay_alu instid0(VALU_DEP_1) | instskip(NEXT) | instid1(VALU_DEP_3)
	v_and_b32_e32 v117, 0x80000000, v117
	v_lshlrev_b32_e32 v119, 20, v40
	s_delay_alu instid0(VALU_DEP_1) | instskip(NEXT) | instid1(VALU_DEP_1)
	v_and_b32_e32 v119, 0x700000, v119
	v_or3_b32 v117, v119, v117, v3
.LBB4_443:                              ;   in Loop: Header=BB4_417 Depth=2
	s_or_b32 exec_lo, exec_lo, s18
.LBB4_444:                              ;   in Loop: Header=BB4_417 Depth=2
	s_delay_alu instid0(SALU_CYCLE_1)
	s_or_b32 exec_lo, exec_lo, s17
.LBB4_445:                              ;   in Loop: Header=BB4_417 Depth=2
	s_delay_alu instid0(SALU_CYCLE_1) | instskip(NEXT) | instid1(VALU_DEP_1)
	s_or_b32 exec_lo, exec_lo, s7
	v_dual_add_f32 v118, v118, v117 :: v_dual_mov_b32 v41, v55
                                        ; implicit-def: $vgpr117
	s_mov_b32 s7, exec_lo
	s_delay_alu instid0(VALU_DEP_1) | instskip(SKIP_1) | instid1(VALU_DEP_2)
	v_and_b32_e32 v40, 0x7f800000, v118
	v_lshrrev_b32_e32 v3, 24, v118
	v_cmpx_ne_u64_e32 0x7f800000, v[40:41]
	s_xor_b32 s17, exec_lo, s7
	s_cbranch_execz .LBB4_459
; %bb.446:                              ;   in Loop: Header=BB4_417 Depth=2
	v_and_b32_e32 v40, 0x7fffffff, v118
	v_mov_b32_e32 v41, v55
	v_and_b32_e32 v3, 0x80, v3
                                        ; implicit-def: $vgpr117
	s_mov_b32 s7, exec_lo
	s_delay_alu instid0(VALU_DEP_2)
	v_cmpx_gt_u64_e32 0x43e00001, v[40:41]
	s_xor_b32 s18, exec_lo, s7
	s_cbranch_execz .LBB4_456
; %bb.447:                              ;   in Loop: Header=BB4_417 Depth=2
	v_mov_b32_e32 v117, 0
	s_mov_b32 s19, exec_lo
	v_cmpx_ne_u32_e32 0, v118
	s_cbranch_execz .LBB4_455
; %bb.448:                              ;   in Loop: Header=BB4_417 Depth=2
	v_bfe_u32 v117, v118, 23, 8
	v_and_b32_e32 v40, 0x7fffff, v118
	s_mov_b32 s20, exec_lo
	s_delay_alu instid0(VALU_DEP_2) | instskip(NEXT) | instid1(VALU_DEP_2)
	v_cmp_gt_u32_e32 vcc_lo, 0x7a, v117
	v_or_b32_e32 v41, 0x800000, v40
	v_sub_nc_u32_e32 v119, 0x79, v117
	s_delay_alu instid0(VALU_DEP_1) | instskip(SKIP_1) | instid1(VALU_DEP_4)
	v_cndmask_b32_e32 v119, 0, v119, vcc_lo
	v_cmp_eq_u32_e32 vcc_lo, 0, v117
	v_dual_cndmask_b32 v40, v41, v40 :: v_dual_mov_b32 v41, v55
	s_delay_alu instid0(VALU_DEP_3) | instskip(NEXT) | instid1(VALU_DEP_1)
	v_cndmask_b32_e64 v43, v119, 0x78, vcc_lo
	v_dual_add_nc_u32 v118, 20, v43 :: v_dual_add_nc_u32 v47, 19, v43
	s_delay_alu instid0(VALU_DEP_1) | instskip(NEXT) | instid1(VALU_DEP_2)
	v_lshlrev_b64_e64 v[118:119], v118, -1
	v_lshlrev_b64_e64 v[58:59], v47, 1
	s_delay_alu instid0(VALU_DEP_2) | instskip(NEXT) | instid1(VALU_DEP_3)
	v_bfi_b32 v61, v119, 0, 0
	v_bfi_b32 v60, v118, 0, v40
	v_lshrrev_b64 v[118:119], v43, v[40:41]
	s_delay_alu instid0(VALU_DEP_1) | instskip(NEXT) | instid1(VALU_DEP_3)
	v_mov_b64_e32 v[40:41], v[118:119]
	v_cmpx_eq_u64_e64 v[60:61], v[58:59]
; %bb.449:                              ;   in Loop: Header=BB4_417 Depth=2
	v_bfe_u32 v40, v118, 20, 1
	v_mov_b32_e32 v41, v55
	s_delay_alu instid0(VALU_DEP_1) | instskip(NEXT) | instid1(VALU_DEP_1)
	v_add_nc_u64_e32 v[40:41], v[118:119], v[40:41]
	v_add_nc_u64_e32 v[40:41], -1, v[40:41]
; %bb.450:                              ;   in Loop: Header=BB4_417 Depth=2
	s_or_b32 exec_lo, exec_lo, s20
	v_add_nc_u32_e32 v117, 0xffffff81, v117
	v_lshrrev_b32_e32 v119, 23, v118
	s_mov_b32 s7, exec_lo
	s_delay_alu instid0(VALU_DEP_2) | instskip(NEXT) | instid1(VALU_DEP_1)
	v_cndmask_b32_e64 v117, v117, 0xffffff82, vcc_lo
	v_add3_u32 v41, v43, v117, v119
	v_and_b32_e32 v117, 0xfffff, v40
	s_delay_alu instid0(VALU_DEP_2) | instskip(NEXT) | instid1(VALU_DEP_2)
	v_dual_mov_b32 v119, v55 :: v_dual_add_nc_u32 v40, 6, v41
	v_add_nc_u32_e32 v118, v117, v118
                                        ; implicit-def: $vgpr117
	s_delay_alu instid0(VALU_DEP_2)
	v_cmpx_ne_u32_e32 0, v40
	s_xor_b32 s7, exec_lo, s7
; %bb.451:                              ;   in Loop: Header=BB4_417 Depth=2
	s_delay_alu instid0(VALU_DEP_2) | instskip(SKIP_1) | instid1(VALU_DEP_1)
	v_cmp_lt_u64_e32 vcc_lo, 0xffffff, v[118:119]
	v_add_nc_u32_e32 v117, 7, v41
	v_cndmask_b32_e32 v117, v40, v117, vcc_lo
	v_cndmask_b32_e64 v40, 0, 1, vcc_lo
	s_delay_alu instid0(VALU_DEP_1)
	v_lshrrev_b64 v[118:119], v40, v[118:119]
; %bb.452:                              ;   in Loop: Header=BB4_417 Depth=2
	s_and_not1_saveexec_b32 s7, s7
; %bb.453:                              ;   in Loop: Header=BB4_417 Depth=2
	s_delay_alu instid0(VALU_DEP_1)
	v_bfe_u32 v117, v118, 23, 1
; %bb.454:                              ;   in Loop: Header=BB4_417 Depth=2
	s_or_b32 exec_lo, exec_lo, s7
	s_delay_alu instid0(VALU_DEP_2) | instskip(NEXT) | instid1(VALU_DEP_2)
	v_lshrrev_b64 v[118:119], 20, v[118:119]
	v_cmp_gt_i32_e32 vcc_lo, 16, v117
	v_min_i32_e32 v40, 15, v117
	v_cmp_eq_u32_e64 s7, 0, v117
	s_delay_alu instid0(VALU_DEP_2) | instskip(SKIP_1) | instid1(VALU_DEP_2)
	v_dual_cndmask_b32 v119, 0, v119 :: v_dual_lshlrev_b32 v40, 3, v40
	v_cndmask_b32_e32 v118, 7, v118, vcc_lo
	v_and_b32_e32 v40, 0xf8, v40
	s_delay_alu instid0(VALU_DEP_2) | instskip(NEXT) | instid1(VALU_DEP_2)
	v_cmp_eq_u64_e32 vcc_lo, 0, v[118:119]
	v_and_or_b32 v117, v118, 7, v40
	s_and_b32 s7, s7, vcc_lo
	s_delay_alu instid0(VALU_DEP_1) | instid1(SALU_CYCLE_1)
	v_cndmask_b32_e64 v117, v117, 0, s7
	s_delay_alu instid0(VALU_DEP_1)
	v_or_b32_e32 v117, v117, v3
.LBB4_455:                              ;   in Loop: Header=BB4_417 Depth=2
	s_or_b32 exec_lo, exec_lo, s19
                                        ; implicit-def: $vgpr3
.LBB4_456:                              ;   in Loop: Header=BB4_417 Depth=2
	s_and_not1_saveexec_b32 s7, s18
; %bb.457:                              ;   in Loop: Header=BB4_417 Depth=2
	v_or_b32_e32 v117, 0x7e, v3
; %bb.458:                              ;   in Loop: Header=BB4_417 Depth=2
	s_or_b32 exec_lo, exec_lo, s7
                                        ; implicit-def: $vgpr3
.LBB4_459:                              ;   in Loop: Header=BB4_417 Depth=2
	s_and_not1_saveexec_b32 s7, s17
; %bb.460:                              ;   in Loop: Header=BB4_417 Depth=2
	v_or_b32_e32 v117, 0x7f, v3
; %bb.461:                              ;   in Loop: Header=BB4_417 Depth=2
	s_or_b32 exec_lo, exec_lo, s7
	v_lshrrev_b16 v118, 8, v2
	v_dual_mov_b32 v3, 0 :: v_dual_mov_b32 v40, 0
	s_mov_b32 s7, exec_lo
	s_delay_alu instid0(VALU_DEP_2)
	v_cmpx_ne_u16_e32 0, v118
	s_cbranch_execz .LBB4_469
; %bb.462:                              ;   in Loop: Header=BB4_417 Depth=2
	v_bfrev_b32_e32 v40, 1
	s_mov_b32 s17, exec_lo
	v_cmpx_ne_u16_e32 0x80, v118
	s_cbranch_execz .LBB4_468
; %bb.463:                              ;   in Loop: Header=BB4_417 Depth=2
	v_and_b32_e32 v118, 0xffff, v118
	v_mov_b32_e32 v40, 0x7f800001
	s_mov_b32 s18, exec_lo
	s_delay_alu instid0(VALU_DEP_2) | instskip(NEXT) | instid1(VALU_DEP_1)
	v_and_b32_e32 v41, 0x7f, v118
	v_cmpx_ne_u32_e32 0x7f, v41
	s_cbranch_execz .LBB4_467
; %bb.464:                              ;   in Loop: Header=BB4_417 Depth=2
	v_dual_mov_b32 v119, v55 :: v_dual_bitop2_b32 v118, 7, v118 bitop3:0x40
	v_lshrrev_b32_e32 v40, 3, v41
	s_mov_b32 s19, exec_lo
	v_cmpx_gt_u32_e32 8, v41
; %bb.465:                              ;   in Loop: Header=BB4_417 Depth=2
	s_delay_alu instid0(VALU_DEP_3) | instskip(NEXT) | instid1(VALU_DEP_1)
	v_clz_i32_u32_e32 v40, v118
	v_min_u32_e32 v40, 32, v40
	s_delay_alu instid0(VALU_DEP_1) | instskip(NEXT) | instid1(VALU_DEP_1)
	v_subrev_nc_u32_e32 v41, 28, v40
	v_lshlrev_b64_e32 v[118:119], v41, v[118:119]
	s_delay_alu instid0(VALU_DEP_1)
	v_dual_sub_nc_u32 v40, 29, v40 :: v_dual_bitop2_b32 v118, 7, v118 bitop3:0x40
; %bb.466:                              ;   in Loop: Header=BB4_417 Depth=2
	s_or_b32 exec_lo, exec_lo, s19
	v_lshlrev_b32_e32 v119, 16, v2
	s_delay_alu instid0(VALU_DEP_2) | instskip(NEXT) | instid1(VALU_DEP_3)
	v_lshlrev_b32_e32 v118, 20, v118
	v_lshl_add_u32 v40, v40, 23, 0x3c000000
	s_delay_alu instid0(VALU_DEP_3) | instskip(NEXT) | instid1(VALU_DEP_1)
	v_and_b32_e32 v119, 0x80000000, v119
	v_or3_b32 v40, v118, v119, v40
.LBB4_467:                              ;   in Loop: Header=BB4_417 Depth=2
	s_or_b32 exec_lo, exec_lo, s18
.LBB4_468:                              ;   in Loop: Header=BB4_417 Depth=2
	s_delay_alu instid0(SALU_CYCLE_1)
	s_or_b32 exec_lo, exec_lo, s17
.LBB4_469:                              ;   in Loop: Header=BB4_417 Depth=2
	s_delay_alu instid0(SALU_CYCLE_1) | instskip(SKIP_2) | instid1(VALU_DEP_1)
	s_or_b32 exec_lo, exec_lo, s7
	v_lshrrev_b16 v118, 8, v54
	s_mov_b32 s7, exec_lo
	v_cmpx_ne_u16_e32 0, v118
	s_cbranch_execz .LBB4_477
; %bb.470:                              ;   in Loop: Header=BB4_417 Depth=2
	v_bfrev_b32_e32 v3, 1
	s_mov_b32 s17, exec_lo
	v_cmpx_ne_u16_e32 0x80, v118
	s_cbranch_execz .LBB4_476
; %bb.471:                              ;   in Loop: Header=BB4_417 Depth=2
	v_and_b32_e32 v118, 0xffff, v118
	v_mov_b32_e32 v3, 0x7f800001
	s_mov_b32 s18, exec_lo
	s_delay_alu instid0(VALU_DEP_2) | instskip(NEXT) | instid1(VALU_DEP_1)
	v_and_b32_e32 v41, 0x7f, v118
	v_cmpx_ne_u32_e32 0x7f, v41
	s_cbranch_execz .LBB4_475
; %bb.472:                              ;   in Loop: Header=BB4_417 Depth=2
	v_dual_mov_b32 v119, v55 :: v_dual_bitop2_b32 v118, 7, v118 bitop3:0x40
	v_lshrrev_b32_e32 v3, 3, v41
	s_mov_b32 s19, exec_lo
	v_cmpx_gt_u32_e32 8, v41
; %bb.473:                              ;   in Loop: Header=BB4_417 Depth=2
	s_delay_alu instid0(VALU_DEP_3) | instskip(NEXT) | instid1(VALU_DEP_1)
	v_clz_i32_u32_e32 v3, v118
	v_min_u32_e32 v3, 32, v3
	s_delay_alu instid0(VALU_DEP_1) | instskip(NEXT) | instid1(VALU_DEP_1)
	v_subrev_nc_u32_e32 v41, 28, v3
	v_lshlrev_b64_e32 v[118:119], v41, v[118:119]
	s_delay_alu instid0(VALU_DEP_1)
	v_dual_sub_nc_u32 v3, 29, v3 :: v_dual_bitop2_b32 v118, 7, v118 bitop3:0x40
; %bb.474:                              ;   in Loop: Header=BB4_417 Depth=2
	s_or_b32 exec_lo, exec_lo, s19
	v_lshlrev_b32_e32 v119, 16, v54
	s_delay_alu instid0(VALU_DEP_2) | instskip(NEXT) | instid1(VALU_DEP_3)
	v_lshlrev_b32_e32 v118, 20, v118
	v_lshl_add_u32 v3, v3, 23, 0x3c000000
	s_delay_alu instid0(VALU_DEP_3) | instskip(NEXT) | instid1(VALU_DEP_1)
	v_and_b32_e32 v119, 0x80000000, v119
	v_or3_b32 v3, v118, v119, v3
.LBB4_475:                              ;   in Loop: Header=BB4_417 Depth=2
	s_or_b32 exec_lo, exec_lo, s18
.LBB4_476:                              ;   in Loop: Header=BB4_417 Depth=2
	s_delay_alu instid0(SALU_CYCLE_1)
	s_or_b32 exec_lo, exec_lo, s17
.LBB4_477:                              ;   in Loop: Header=BB4_417 Depth=2
	s_delay_alu instid0(SALU_CYCLE_1) | instskip(NEXT) | instid1(VALU_DEP_1)
	s_or_b32 exec_lo, exec_lo, s7
	v_dual_add_f32 v118, v40, v3 :: v_dual_mov_b32 v41, v55
                                        ; implicit-def: $vgpr43
	s_mov_b32 s7, exec_lo
	s_delay_alu instid0(VALU_DEP_1) | instskip(SKIP_1) | instid1(VALU_DEP_2)
	v_and_b32_e32 v40, 0x7f800000, v118
	v_lshrrev_b32_e32 v3, 24, v118
	v_cmpx_ne_u64_e32 0x7f800000, v[40:41]
	s_xor_b32 s17, exec_lo, s7
	s_cbranch_execz .LBB4_491
; %bb.478:                              ;   in Loop: Header=BB4_417 Depth=2
	v_and_b32_e32 v40, 0x7fffffff, v118
	v_mov_b32_e32 v41, v55
	v_and_b32_e32 v3, 0x80, v3
                                        ; implicit-def: $vgpr43
	s_mov_b32 s7, exec_lo
	s_delay_alu instid0(VALU_DEP_2)
	v_cmpx_gt_u64_e32 0x43e00001, v[40:41]
	s_xor_b32 s18, exec_lo, s7
	s_cbranch_execz .LBB4_488
; %bb.479:                              ;   in Loop: Header=BB4_417 Depth=2
	v_mov_b32_e32 v43, 0
	s_mov_b32 s19, exec_lo
	v_cmpx_ne_u32_e32 0, v118
	s_cbranch_execz .LBB4_487
; %bb.480:                              ;   in Loop: Header=BB4_417 Depth=2
	v_bfe_u32 v43, v118, 23, 8
	v_and_b32_e32 v40, 0x7fffff, v118
	s_mov_b32 s20, exec_lo
	s_delay_alu instid0(VALU_DEP_2) | instskip(NEXT) | instid1(VALU_DEP_2)
	v_cmp_gt_u32_e32 vcc_lo, 0x7a, v43
	v_or_b32_e32 v41, 0x800000, v40
	v_sub_nc_u32_e32 v119, 0x79, v43
	s_delay_alu instid0(VALU_DEP_1) | instskip(SKIP_1) | instid1(VALU_DEP_4)
	v_cndmask_b32_e32 v119, 0, v119, vcc_lo
	v_cmp_eq_u32_e32 vcc_lo, 0, v43
	v_dual_cndmask_b32 v40, v41, v40 :: v_dual_mov_b32 v41, v55
	s_delay_alu instid0(VALU_DEP_3) | instskip(NEXT) | instid1(VALU_DEP_1)
	v_cndmask_b32_e64 v47, v119, 0x78, vcc_lo
	v_dual_add_nc_u32 v118, 20, v47 :: v_dual_add_nc_u32 v58, 19, v47
	s_delay_alu instid0(VALU_DEP_1) | instskip(NEXT) | instid1(VALU_DEP_2)
	v_lshlrev_b64_e64 v[118:119], v118, -1
	v_lshlrev_b64_e64 v[58:59], v58, 1
	s_delay_alu instid0(VALU_DEP_2) | instskip(NEXT) | instid1(VALU_DEP_3)
	v_bfi_b32 v61, v119, 0, 0
	v_bfi_b32 v60, v118, 0, v40
	v_lshrrev_b64 v[118:119], v47, v[40:41]
	s_delay_alu instid0(VALU_DEP_1) | instskip(NEXT) | instid1(VALU_DEP_3)
	v_mov_b64_e32 v[40:41], v[118:119]
	v_cmpx_eq_u64_e64 v[60:61], v[58:59]
; %bb.481:                              ;   in Loop: Header=BB4_417 Depth=2
	v_bfe_u32 v40, v118, 20, 1
	v_mov_b32_e32 v41, v55
	s_delay_alu instid0(VALU_DEP_1) | instskip(NEXT) | instid1(VALU_DEP_1)
	v_add_nc_u64_e32 v[40:41], v[118:119], v[40:41]
	v_add_nc_u64_e32 v[40:41], -1, v[40:41]
; %bb.482:                              ;   in Loop: Header=BB4_417 Depth=2
	s_or_b32 exec_lo, exec_lo, s20
	v_add_nc_u32_e32 v119, 0xffffff81, v43
	v_lshrrev_b32_e32 v41, 23, v118
	s_mov_b32 s7, exec_lo
	s_delay_alu instid0(VALU_DEP_2) | instskip(NEXT) | instid1(VALU_DEP_1)
	v_cndmask_b32_e64 v119, v119, 0xffffff82, vcc_lo
	v_add3_u32 v41, v47, v119, v41
	v_and_b32_e32 v119, 0xfffff, v40
                                        ; implicit-def: $vgpr40
	s_delay_alu instid0(VALU_DEP_1) | instskip(SKIP_1) | instid1(VALU_DEP_2)
	v_dual_add_nc_u32 v43, 6, v41 :: v_dual_add_nc_u32 v118, v119, v118
	v_mov_b32_e32 v119, v55
	v_cmpx_ne_u32_e32 0, v43
	s_xor_b32 s7, exec_lo, s7
; %bb.483:                              ;   in Loop: Header=BB4_417 Depth=2
	s_delay_alu instid0(VALU_DEP_2) | instskip(SKIP_2) | instid1(VALU_DEP_2)
	v_cmp_lt_u64_e32 vcc_lo, 0xffffff, v[118:119]
	v_add_nc_u32_e32 v40, 7, v41
	v_cndmask_b32_e64 v41, 0, 1, vcc_lo
	v_cndmask_b32_e32 v40, v43, v40, vcc_lo
	s_delay_alu instid0(VALU_DEP_2)
	v_lshrrev_b64 v[118:119], v41, v[118:119]
; %bb.484:                              ;   in Loop: Header=BB4_417 Depth=2
	s_and_not1_saveexec_b32 s7, s7
; %bb.485:                              ;   in Loop: Header=BB4_417 Depth=2
	s_delay_alu instid0(VALU_DEP_1)
	v_bfe_u32 v40, v118, 23, 1
; %bb.486:                              ;   in Loop: Header=BB4_417 Depth=2
	s_or_b32 exec_lo, exec_lo, s7
	s_delay_alu instid0(VALU_DEP_2) | instskip(NEXT) | instid1(VALU_DEP_2)
	v_lshrrev_b64 v[118:119], 20, v[118:119]
	v_cmp_gt_i32_e32 vcc_lo, 16, v40
	v_min_i32_e32 v41, 15, v40
	v_cmp_eq_u32_e64 s7, 0, v40
	s_delay_alu instid0(VALU_DEP_2) | instskip(SKIP_1) | instid1(VALU_DEP_2)
	v_dual_cndmask_b32 v119, 0, v119, vcc_lo :: v_dual_lshlrev_b32 v41, 3, v41
	v_cndmask_b32_e32 v118, 7, v118, vcc_lo
	v_and_b32_e32 v41, 0xf8, v41
	s_delay_alu instid0(VALU_DEP_2) | instskip(NEXT) | instid1(VALU_DEP_2)
	v_cmp_eq_u64_e32 vcc_lo, 0, v[118:119]
	v_and_or_b32 v118, v118, 7, v41
	s_and_b32 s7, s7, vcc_lo
	s_delay_alu instid0(VALU_DEP_1) | instid1(SALU_CYCLE_1)
	v_cndmask_b32_e64 v118, v118, 0, s7
	s_delay_alu instid0(VALU_DEP_1)
	v_or_b32_e32 v43, v118, v3
.LBB4_487:                              ;   in Loop: Header=BB4_417 Depth=2
	s_or_b32 exec_lo, exec_lo, s19
                                        ; implicit-def: $vgpr3
.LBB4_488:                              ;   in Loop: Header=BB4_417 Depth=2
	s_and_not1_saveexec_b32 s7, s18
; %bb.489:                              ;   in Loop: Header=BB4_417 Depth=2
	v_or_b32_e32 v43, 0x7e, v3
; %bb.490:                              ;   in Loop: Header=BB4_417 Depth=2
	s_or_b32 exec_lo, exec_lo, s7
                                        ; implicit-def: $vgpr3
.LBB4_491:                              ;   in Loop: Header=BB4_417 Depth=2
	s_and_not1_saveexec_b32 s7, s17
; %bb.492:                              ;   in Loop: Header=BB4_417 Depth=2
	v_or_b32_e32 v43, 0x7f, v3
; %bb.493:                              ;   in Loop: Header=BB4_417 Depth=2
	s_or_b32 exec_lo, exec_lo, s7
	v_dual_lshrrev_b32 v41, 16, v2 :: v_dual_mov_b32 v3, 0
	v_mov_b32_e32 v40, 0
	s_mov_b32 s7, exec_lo
	s_delay_alu instid0(VALU_DEP_2) | instskip(NEXT) | instid1(VALU_DEP_1)
	v_and_b32_e32 v118, 0xff, v41
	v_cmpx_ne_u16_e32 0, v118
	s_cbranch_execz .LBB4_501
; %bb.494:                              ;   in Loop: Header=BB4_417 Depth=2
	v_bfrev_b32_e32 v40, 1
	s_mov_b32 s17, exec_lo
	v_cmpx_ne_u16_e32 0x80, v118
	s_cbranch_execz .LBB4_500
; %bb.495:                              ;   in Loop: Header=BB4_417 Depth=2
	v_bfe_u32 v47, v2, 16, 7
	v_mov_b32_e32 v40, 0x7f800001
	s_mov_b32 s18, exec_lo
	s_delay_alu instid0(VALU_DEP_2)
	v_cmpx_ne_u32_e32 0x7f, v47
	s_cbranch_execz .LBB4_499
; %bb.496:                              ;   in Loop: Header=BB4_417 Depth=2
	v_dual_mov_b32 v119, v55 :: v_dual_bitop2_b32 v118, 7, v41 bitop3:0x40
	v_lshrrev_b32_e32 v40, 3, v47
	s_mov_b32 s19, exec_lo
	v_cmpx_gt_u32_e32 8, v47
; %bb.497:                              ;   in Loop: Header=BB4_417 Depth=2
	s_delay_alu instid0(VALU_DEP_3) | instskip(NEXT) | instid1(VALU_DEP_1)
	v_clz_i32_u32_e32 v40, v118
	v_min_u32_e32 v40, 32, v40
	s_delay_alu instid0(VALU_DEP_1) | instskip(NEXT) | instid1(VALU_DEP_1)
	v_subrev_nc_u32_e32 v47, 28, v40
	v_lshlrev_b64_e32 v[118:119], v47, v[118:119]
	s_delay_alu instid0(VALU_DEP_1)
	v_dual_sub_nc_u32 v40, 29, v40 :: v_dual_bitop2_b32 v118, 7, v118 bitop3:0x40
; %bb.498:                              ;   in Loop: Header=BB4_417 Depth=2
	s_or_b32 exec_lo, exec_lo, s19
	s_delay_alu instid0(VALU_DEP_1) | instskip(NEXT) | instid1(VALU_DEP_2)
	v_dual_lshlrev_b32 v119, 24, v41 :: v_dual_lshlrev_b32 v118, 20, v118
	v_lshl_add_u32 v40, v40, 23, 0x3c000000
	s_delay_alu instid0(VALU_DEP_2) | instskip(NEXT) | instid1(VALU_DEP_1)
	v_and_b32_e32 v119, 0x80000000, v119
	v_or3_b32 v40, v118, v119, v40
.LBB4_499:                              ;   in Loop: Header=BB4_417 Depth=2
	s_or_b32 exec_lo, exec_lo, s18
.LBB4_500:                              ;   in Loop: Header=BB4_417 Depth=2
	s_delay_alu instid0(SALU_CYCLE_1)
	s_or_b32 exec_lo, exec_lo, s17
.LBB4_501:                              ;   in Loop: Header=BB4_417 Depth=2
	s_delay_alu instid0(SALU_CYCLE_1) | instskip(SKIP_2) | instid1(VALU_DEP_1)
	s_or_b32 exec_lo, exec_lo, s7
	v_lshrrev_b32_e32 v118, 16, v54
	s_mov_b32 s7, exec_lo
	v_and_b32_e32 v119, 0xff, v118
	s_delay_alu instid0(VALU_DEP_1)
	v_cmpx_ne_u16_e32 0, v119
	s_cbranch_execz .LBB4_509
; %bb.502:                              ;   in Loop: Header=BB4_417 Depth=2
	v_bfrev_b32_e32 v3, 1
	s_mov_b32 s17, exec_lo
	v_cmpx_ne_u16_e32 0x80, v119
	s_cbranch_execz .LBB4_508
; %bb.503:                              ;   in Loop: Header=BB4_417 Depth=2
	v_bfe_u32 v41, v54, 16, 7
	v_mov_b32_e32 v3, 0x7f800001
	s_mov_b32 s18, exec_lo
	s_delay_alu instid0(VALU_DEP_2)
	v_cmpx_ne_u32_e32 0x7f, v41
	s_cbranch_execz .LBB4_507
; %bb.504:                              ;   in Loop: Header=BB4_417 Depth=2
	v_dual_mov_b32 v119, v55 :: v_dual_bitop2_b32 v118, 7, v118 bitop3:0x40
	v_lshrrev_b32_e32 v3, 3, v41
	s_mov_b32 s19, exec_lo
	v_cmpx_gt_u32_e32 8, v41
; %bb.505:                              ;   in Loop: Header=BB4_417 Depth=2
	s_delay_alu instid0(VALU_DEP_3) | instskip(NEXT) | instid1(VALU_DEP_1)
	v_clz_i32_u32_e32 v3, v118
	v_min_u32_e32 v3, 32, v3
	s_delay_alu instid0(VALU_DEP_1) | instskip(NEXT) | instid1(VALU_DEP_1)
	v_subrev_nc_u32_e32 v41, 28, v3
	v_lshlrev_b64_e32 v[118:119], v41, v[118:119]
	s_delay_alu instid0(VALU_DEP_1)
	v_dual_sub_nc_u32 v3, 29, v3 :: v_dual_bitop2_b32 v118, 7, v118 bitop3:0x40
; %bb.506:                              ;   in Loop: Header=BB4_417 Depth=2
	s_or_b32 exec_lo, exec_lo, s19
	v_lshlrev_b32_e32 v119, 8, v54
	s_delay_alu instid0(VALU_DEP_2) | instskip(NEXT) | instid1(VALU_DEP_3)
	v_lshlrev_b32_e32 v118, 20, v118
	v_lshl_add_u32 v3, v3, 23, 0x3c000000
	s_delay_alu instid0(VALU_DEP_3) | instskip(NEXT) | instid1(VALU_DEP_1)
	v_and_b32_e32 v119, 0x80000000, v119
	v_or3_b32 v3, v118, v119, v3
.LBB4_507:                              ;   in Loop: Header=BB4_417 Depth=2
	s_or_b32 exec_lo, exec_lo, s18
.LBB4_508:                              ;   in Loop: Header=BB4_417 Depth=2
	s_delay_alu instid0(SALU_CYCLE_1)
	s_or_b32 exec_lo, exec_lo, s17
.LBB4_509:                              ;   in Loop: Header=BB4_417 Depth=2
	s_delay_alu instid0(SALU_CYCLE_1) | instskip(NEXT) | instid1(VALU_DEP_1)
	s_or_b32 exec_lo, exec_lo, s7
	v_dual_add_f32 v118, v40, v3 :: v_dual_mov_b32 v41, v55
	s_delay_alu instid0(VALU_DEP_1) | instskip(SKIP_1) | instid1(VALU_DEP_2)
	v_and_b32_e32 v40, 0x7f800000, v118
	v_lshrrev_b32_e32 v3, 24, v118
	v_cmp_ne_u64_e32 vcc_lo, 0x7f800000, v[40:41]
                                        ; implicit-def: $vgpr40
	s_and_saveexec_b32 s7, vcc_lo
	s_delay_alu instid0(SALU_CYCLE_1)
	s_xor_b32 s17, exec_lo, s7
	s_cbranch_execz .LBB4_523
; %bb.510:                              ;   in Loop: Header=BB4_417 Depth=2
	v_and_b32_e32 v40, 0x7fffffff, v118
	v_mov_b32_e32 v41, v55
	v_and_b32_e32 v3, 0x80, v3
	s_delay_alu instid0(VALU_DEP_2) | instskip(SKIP_1) | instid1(SALU_CYCLE_1)
	v_cmp_gt_u64_e32 vcc_lo, 0x43e00001, v[40:41]
                                        ; implicit-def: $vgpr40
	s_and_saveexec_b32 s7, vcc_lo
	s_xor_b32 s18, exec_lo, s7
	s_cbranch_execz .LBB4_520
; %bb.511:                              ;   in Loop: Header=BB4_417 Depth=2
	v_mov_b32_e32 v40, 0
	s_mov_b32 s19, exec_lo
	v_cmpx_ne_u32_e32 0, v118
	s_cbranch_execz .LBB4_519
; %bb.512:                              ;   in Loop: Header=BB4_417 Depth=2
	v_bfe_u32 v47, v118, 23, 8
	v_and_b32_e32 v40, 0x7fffff, v118
	s_mov_b32 s20, exec_lo
	s_delay_alu instid0(VALU_DEP_2) | instskip(NEXT) | instid1(VALU_DEP_2)
	v_cmp_gt_u32_e32 vcc_lo, 0x7a, v47
	v_or_b32_e32 v41, 0x800000, v40
	v_sub_nc_u32_e32 v119, 0x79, v47
	s_delay_alu instid0(VALU_DEP_1) | instskip(SKIP_1) | instid1(VALU_DEP_2)
	v_cndmask_b32_e32 v119, 0, v119, vcc_lo
	v_cmp_eq_u32_e32 vcc_lo, 0, v47
	v_cndmask_b32_e64 v58, v119, 0x78, vcc_lo
	v_dual_cndmask_b32 v40, v41, v40 :: v_dual_mov_b32 v41, v55
	s_delay_alu instid0(VALU_DEP_2) | instskip(NEXT) | instid1(VALU_DEP_1)
	v_dual_add_nc_u32 v59, 19, v58 :: v_dual_add_nc_u32 v118, 20, v58
	v_lshlrev_b64_e64 v[60:61], v59, 1
	s_delay_alu instid0(VALU_DEP_2) | instskip(NEXT) | instid1(VALU_DEP_1)
	v_lshlrev_b64_e64 v[118:119], v118, -1
	v_bfi_b32 v63, v119, 0, 0
	s_delay_alu instid0(VALU_DEP_2) | instskip(SKIP_1) | instid1(VALU_DEP_1)
	v_bfi_b32 v62, v118, 0, v40
	v_lshrrev_b64 v[118:119], v58, v[40:41]
	v_mov_b64_e32 v[40:41], v[118:119]
	s_delay_alu instid0(VALU_DEP_3)
	v_cmpx_eq_u64_e64 v[62:63], v[60:61]
; %bb.513:                              ;   in Loop: Header=BB4_417 Depth=2
	v_bfe_u32 v40, v118, 20, 1
	v_mov_b32_e32 v41, v55
	s_delay_alu instid0(VALU_DEP_1) | instskip(NEXT) | instid1(VALU_DEP_1)
	v_add_nc_u64_e32 v[40:41], v[118:119], v[40:41]
	v_add_nc_u64_e32 v[40:41], -1, v[40:41]
; %bb.514:                              ;   in Loop: Header=BB4_417 Depth=2
	s_or_b32 exec_lo, exec_lo, s20
	v_add_nc_u32_e32 v119, 0xffffff81, v47
	v_lshrrev_b32_e32 v41, 23, v118
	s_mov_b32 s7, exec_lo
	s_delay_alu instid0(VALU_DEP_2) | instskip(NEXT) | instid1(VALU_DEP_1)
	v_cndmask_b32_e64 v119, v119, 0xffffff82, vcc_lo
	v_add3_u32 v41, v58, v119, v41
	v_and_b32_e32 v119, 0xfffff, v40
                                        ; implicit-def: $vgpr40
	s_delay_alu instid0(VALU_DEP_1) | instskip(SKIP_1) | instid1(VALU_DEP_2)
	v_dual_add_nc_u32 v47, 6, v41 :: v_dual_add_nc_u32 v118, v119, v118
	v_mov_b32_e32 v119, v55
	v_cmpx_ne_u32_e32 0, v47
	s_xor_b32 s7, exec_lo, s7
; %bb.515:                              ;   in Loop: Header=BB4_417 Depth=2
	s_delay_alu instid0(VALU_DEP_2) | instskip(SKIP_2) | instid1(VALU_DEP_2)
	v_cmp_lt_u64_e32 vcc_lo, 0xffffff, v[118:119]
	v_add_nc_u32_e32 v40, 7, v41
	v_cndmask_b32_e64 v41, 0, 1, vcc_lo
	v_cndmask_b32_e32 v40, v47, v40, vcc_lo
	s_delay_alu instid0(VALU_DEP_2)
	v_lshrrev_b64 v[118:119], v41, v[118:119]
; %bb.516:                              ;   in Loop: Header=BB4_417 Depth=2
	s_and_not1_saveexec_b32 s7, s7
; %bb.517:                              ;   in Loop: Header=BB4_417 Depth=2
	s_delay_alu instid0(VALU_DEP_1)
	v_bfe_u32 v40, v118, 23, 1
; %bb.518:                              ;   in Loop: Header=BB4_417 Depth=2
	s_or_b32 exec_lo, exec_lo, s7
	s_delay_alu instid0(VALU_DEP_2) | instskip(NEXT) | instid1(VALU_DEP_2)
	v_lshrrev_b64 v[118:119], 20, v[118:119]
	v_cmp_gt_i32_e32 vcc_lo, 16, v40
	v_min_i32_e32 v41, 15, v40
	v_cmp_eq_u32_e64 s7, 0, v40
	s_delay_alu instid0(VALU_DEP_2) | instskip(SKIP_1) | instid1(VALU_DEP_2)
	v_dual_cndmask_b32 v119, 0, v119, vcc_lo :: v_dual_lshlrev_b32 v41, 3, v41
	v_cndmask_b32_e32 v118, 7, v118, vcc_lo
	v_and_b32_e32 v41, 0xf8, v41
	s_delay_alu instid0(VALU_DEP_2) | instskip(NEXT) | instid1(VALU_DEP_2)
	v_cmp_eq_u64_e32 vcc_lo, 0, v[118:119]
	v_and_or_b32 v118, v118, 7, v41
	s_and_b32 s7, s7, vcc_lo
	s_delay_alu instid0(VALU_DEP_1) | instid1(SALU_CYCLE_1)
	v_cndmask_b32_e64 v118, v118, 0, s7
	s_delay_alu instid0(VALU_DEP_1)
	v_or_b32_e32 v40, v118, v3
.LBB4_519:                              ;   in Loop: Header=BB4_417 Depth=2
	s_or_b32 exec_lo, exec_lo, s19
                                        ; implicit-def: $vgpr3
.LBB4_520:                              ;   in Loop: Header=BB4_417 Depth=2
	s_and_not1_saveexec_b32 s7, s18
; %bb.521:                              ;   in Loop: Header=BB4_417 Depth=2
	v_or_b32_e32 v40, 0x7e, v3
; %bb.522:                              ;   in Loop: Header=BB4_417 Depth=2
	s_or_b32 exec_lo, exec_lo, s7
                                        ; implicit-def: $vgpr3
.LBB4_523:                              ;   in Loop: Header=BB4_417 Depth=2
	s_and_not1_saveexec_b32 s7, s17
; %bb.524:                              ;   in Loop: Header=BB4_417 Depth=2
	v_or_b32_e32 v40, 0x7f, v3
; %bb.525:                              ;   in Loop: Header=BB4_417 Depth=2
	s_or_b32 exec_lo, exec_lo, s7
	v_dual_mov_b32 v118, 0 :: v_dual_mov_b32 v3, 0
	s_mov_b32 s7, exec_lo
	v_cmpx_lt_u32_e32 0xffffff, v2
	s_cbranch_execz .LBB4_533
; %bb.526:                              ;   in Loop: Header=BB4_417 Depth=2
	v_lshrrev_b32_e32 v119, 24, v2
	v_bfrev_b32_e32 v3, 1
	s_mov_b32 s17, exec_lo
	s_delay_alu instid0(VALU_DEP_2)
	v_cmpx_ne_u32_e32 0x80, v119
	s_cbranch_execz .LBB4_532
; %bb.527:                              ;   in Loop: Header=BB4_417 Depth=2
	v_bfe_u32 v47, v2, 24, 7
	v_mov_b32_e32 v3, 0x7f800001
	s_mov_b32 s18, exec_lo
	s_delay_alu instid0(VALU_DEP_2)
	v_cmpx_ne_u32_e32 0x7f, v47
	s_cbranch_execz .LBB4_531
; %bb.528:                              ;   in Loop: Header=BB4_417 Depth=2
	v_dual_mov_b32 v3, v55 :: v_dual_bitop2_b32 v2, 7, v119 bitop3:0x40
	v_lshrrev_b32_e32 v41, 3, v47
	s_mov_b32 s19, exec_lo
	v_cmpx_gt_u32_e32 8, v47
; %bb.529:                              ;   in Loop: Header=BB4_417 Depth=2
	s_delay_alu instid0(VALU_DEP_3) | instskip(NEXT) | instid1(VALU_DEP_1)
	v_clz_i32_u32_e32 v41, v2
	v_min_u32_e32 v41, 32, v41
	s_delay_alu instid0(VALU_DEP_1) | instskip(NEXT) | instid1(VALU_DEP_1)
	v_subrev_nc_u32_e32 v47, 28, v41
	v_lshlrev_b64_e32 v[2:3], v47, v[2:3]
	s_delay_alu instid0(VALU_DEP_1)
	v_dual_sub_nc_u32 v41, 29, v41 :: v_dual_bitop2_b32 v2, 7, v2 bitop3:0x40
; %bb.530:                              ;   in Loop: Header=BB4_417 Depth=2
	s_or_b32 exec_lo, exec_lo, s19
	s_delay_alu instid0(VALU_DEP_1) | instskip(NEXT) | instid1(VALU_DEP_2)
	v_dual_lshlrev_b32 v3, 24, v119 :: v_dual_lshlrev_b32 v2, 20, v2
	v_lshl_add_u32 v119, v41, 23, 0x3c000000
	s_delay_alu instid0(VALU_DEP_2) | instskip(NEXT) | instid1(VALU_DEP_1)
	v_and_b32_e32 v3, 0x80000000, v3
	v_or3_b32 v3, v2, v3, v119
.LBB4_531:                              ;   in Loop: Header=BB4_417 Depth=2
	s_or_b32 exec_lo, exec_lo, s18
.LBB4_532:                              ;   in Loop: Header=BB4_417 Depth=2
	s_delay_alu instid0(SALU_CYCLE_1)
	s_or_b32 exec_lo, exec_lo, s17
.LBB4_533:                              ;   in Loop: Header=BB4_417 Depth=2
	s_delay_alu instid0(SALU_CYCLE_1) | instskip(NEXT) | instid1(SALU_CYCLE_1)
	s_or_b32 exec_lo, exec_lo, s7
	s_mov_b32 s7, exec_lo
	v_cmpx_lt_u32_e32 0xffffff, v54
	s_cbranch_execz .LBB4_541
; %bb.534:                              ;   in Loop: Header=BB4_417 Depth=2
	v_lshrrev_b32_e32 v2, 24, v54
	v_bfrev_b32_e32 v118, 1
	s_mov_b32 s17, exec_lo
	s_delay_alu instid0(VALU_DEP_2)
	v_cmpx_ne_u32_e32 0x80, v2
	s_cbranch_execz .LBB4_540
; %bb.535:                              ;   in Loop: Header=BB4_417 Depth=2
	v_bfe_u32 v119, v54, 24, 7
	v_mov_b32_e32 v118, 0x7f800001
	s_mov_b32 s18, exec_lo
	s_delay_alu instid0(VALU_DEP_2)
	v_cmpx_ne_u32_e32 0x7f, v119
	s_cbranch_execz .LBB4_539
; %bb.536:                              ;   in Loop: Header=BB4_417 Depth=2
	v_dual_lshrrev_b32 v118, 3, v119 :: v_dual_bitop2_b32 v54, 7, v2 bitop3:0x40
	s_mov_b32 s19, exec_lo
	v_cmpx_gt_u32_e32 8, v119
; %bb.537:                              ;   in Loop: Header=BB4_417 Depth=2
	s_delay_alu instid0(VALU_DEP_2) | instskip(NEXT) | instid1(VALU_DEP_1)
	v_clz_i32_u32_e32 v118, v54
	v_min_u32_e32 v118, 32, v118
	s_delay_alu instid0(VALU_DEP_1) | instskip(SKIP_1) | instid1(VALU_DEP_2)
	v_subrev_nc_u32_e32 v119, 28, v118
	v_sub_nc_u32_e32 v118, 29, v118
	v_lshlrev_b64_e32 v[58:59], v119, v[54:55]
	s_delay_alu instid0(VALU_DEP_1)
	v_and_b32_e32 v54, 7, v58
; %bb.538:                              ;   in Loop: Header=BB4_417 Depth=2
	s_or_b32 exec_lo, exec_lo, s19
	v_lshlrev_b32_e32 v2, 24, v2
	s_delay_alu instid0(VALU_DEP_2) | instskip(SKIP_1) | instid1(VALU_DEP_3)
	v_lshlrev_b32_e32 v54, 20, v54
	v_lshl_add_u32 v118, v118, 23, 0x3c000000
	v_and_b32_e32 v2, 0x80000000, v2
	s_delay_alu instid0(VALU_DEP_1)
	v_or3_b32 v118, v54, v2, v118
.LBB4_539:                              ;   in Loop: Header=BB4_417 Depth=2
	s_or_b32 exec_lo, exec_lo, s18
.LBB4_540:                              ;   in Loop: Header=BB4_417 Depth=2
	s_delay_alu instid0(SALU_CYCLE_1)
	s_or_b32 exec_lo, exec_lo, s17
.LBB4_541:                              ;   in Loop: Header=BB4_417 Depth=2
	s_delay_alu instid0(SALU_CYCLE_1) | instskip(NEXT) | instid1(VALU_DEP_1)
	s_or_b32 exec_lo, exec_lo, s7
	v_add_f32_e32 v2, v3, v118
                                        ; implicit-def: $vgpr41
	s_mov_b32 s7, exec_lo
	s_delay_alu instid0(VALU_DEP_1) | instskip(SKIP_1) | instid1(VALU_DEP_2)
	v_and_b32_e32 v54, 0x7f800000, v2
	v_lshrrev_b32_e32 v3, 24, v2
	v_cmpx_ne_u64_e32 0x7f800000, v[54:55]
	s_xor_b32 s17, exec_lo, s7
	s_cbranch_execz .LBB4_555
; %bb.542:                              ;   in Loop: Header=BB4_417 Depth=2
	v_and_b32_e32 v54, 0x7fffffff, v2
	v_and_b32_e32 v47, 0x80, v3
                                        ; implicit-def: $vgpr41
	s_mov_b32 s7, exec_lo
	s_delay_alu instid0(VALU_DEP_2)
	v_cmpx_gt_u64_e32 0x43e00001, v[54:55]
	s_xor_b32 s18, exec_lo, s7
	s_cbranch_execz .LBB4_552
; %bb.543:                              ;   in Loop: Header=BB4_417 Depth=2
	v_mov_b32_e32 v41, 0
	s_mov_b32 s19, exec_lo
	v_cmpx_ne_u32_e32 0, v2
	s_cbranch_execz .LBB4_551
; %bb.544:                              ;   in Loop: Header=BB4_417 Depth=2
	v_bfe_u32 v41, v2, 23, 8
	v_and_b32_e32 v54, 0x7fffff, v2
	s_delay_alu instid0(VALU_DEP_2) | instskip(NEXT) | instid1(VALU_DEP_2)
	v_cmp_gt_u32_e32 vcc_lo, 0x7a, v41
	v_or_b32_e32 v118, 0x800000, v54
	v_sub_nc_u32_e32 v3, 0x79, v41
	s_delay_alu instid0(VALU_DEP_1) | instskip(SKIP_1) | instid1(VALU_DEP_2)
	v_cndmask_b32_e32 v3, 0, v3, vcc_lo
	v_cmp_eq_u32_e32 vcc_lo, 0, v41
	v_cndmask_b32_e64 v58, v3, 0x78, vcc_lo
	v_cndmask_b32_e32 v54, v118, v54, vcc_lo
	s_delay_alu instid0(VALU_DEP_2) | instskip(NEXT) | instid1(VALU_DEP_1)
	v_dual_add_nc_u32 v2, 20, v58 :: v_dual_add_nc_u32 v119, 19, v58
	v_lshlrev_b64_e64 v[2:3], v2, -1
	s_delay_alu instid0(VALU_DEP_2) | instskip(NEXT) | instid1(VALU_DEP_2)
	v_lshlrev_b64_e64 v[118:119], v119, 1
	v_bfi_b32 v61, v3, 0, 0
	s_delay_alu instid0(VALU_DEP_3) | instskip(SKIP_1) | instid1(VALU_DEP_2)
	v_bfi_b32 v60, v2, 0, v54
	v_lshrrev_b64 v[2:3], v58, v[54:55]
	v_cmp_eq_u64_e64 s7, v[60:61], v[118:119]
	s_delay_alu instid0(VALU_DEP_2)
	v_mov_b64_e32 v[118:119], v[2:3]
	s_and_saveexec_b32 s20, s7
; %bb.545:                              ;   in Loop: Header=BB4_417 Depth=2
	v_bfe_u32 v54, v2, 20, 1
	s_delay_alu instid0(VALU_DEP_1) | instskip(NEXT) | instid1(VALU_DEP_1)
	v_add_nc_u64_e32 v[118:119], v[2:3], v[54:55]
	v_add_nc_u64_e32 v[118:119], -1, v[118:119]
; %bb.546:                              ;   in Loop: Header=BB4_417 Depth=2
	s_or_b32 exec_lo, exec_lo, s20
	v_add_nc_u32_e32 v3, 0xffffff81, v41
	v_lshrrev_b32_e32 v54, 23, v2
	s_mov_b32 s7, exec_lo
	s_delay_alu instid0(VALU_DEP_2) | instskip(NEXT) | instid1(VALU_DEP_1)
	v_cndmask_b32_e64 v3, v3, 0xffffff82, vcc_lo
	v_add3_u32 v119, v58, v3, v54
	v_and_b32_e32 v3, 0xfffff, v118
                                        ; implicit-def: $vgpr118
	s_delay_alu instid0(VALU_DEP_1) | instskip(NEXT) | instid1(VALU_DEP_1)
	v_dual_add_nc_u32 v41, 6, v119 :: v_dual_add_nc_u32 v54, v3, v2
                                        ; implicit-def: $vgpr2_vgpr3
	v_cmpx_ne_u32_e32 0, v41
	s_xor_b32 s7, exec_lo, s7
; %bb.547:                              ;   in Loop: Header=BB4_417 Depth=2
	s_delay_alu instid0(VALU_DEP_2) | instskip(SKIP_1) | instid1(VALU_DEP_1)
	v_cmp_lt_u64_e32 vcc_lo, 0xffffff, v[54:55]
	v_add_nc_u32_e32 v2, 7, v119
	v_cndmask_b32_e32 v118, v41, v2, vcc_lo
	v_cndmask_b32_e64 v2, 0, 1, vcc_lo
	s_delay_alu instid0(VALU_DEP_1)
	v_lshrrev_b64 v[2:3], v2, v[54:55]
; %bb.548:                              ;   in Loop: Header=BB4_417 Depth=2
	s_and_not1_saveexec_b32 s7, s7
; %bb.549:                              ;   in Loop: Header=BB4_417 Depth=2
	v_mov_b64_e32 v[2:3], v[54:55]
	v_bfe_u32 v118, v54, 23, 1
; %bb.550:                              ;   in Loop: Header=BB4_417 Depth=2
	s_or_b32 exec_lo, exec_lo, s7
	s_delay_alu instid0(VALU_DEP_2) | instskip(NEXT) | instid1(VALU_DEP_2)
	v_lshrrev_b64 v[2:3], 20, v[2:3]
	v_cmp_gt_i32_e32 vcc_lo, 16, v118
	v_min_i32_e32 v54, 15, v118
	v_cmp_eq_u32_e64 s7, 0, v118
	s_delay_alu instid0(VALU_DEP_2) | instskip(SKIP_1) | instid1(VALU_DEP_2)
	v_dual_cndmask_b32 v3, 0, v3 :: v_dual_lshlrev_b32 v54, 3, v54
	v_cndmask_b32_e32 v2, 7, v2, vcc_lo
	v_and_b32_e32 v54, 0xf8, v54
	s_delay_alu instid0(VALU_DEP_2) | instskip(NEXT) | instid1(VALU_DEP_2)
	v_cmp_eq_u64_e32 vcc_lo, 0, v[2:3]
	v_and_or_b32 v2, v2, 7, v54
	s_and_b32 s7, s7, vcc_lo
	s_delay_alu instid0(VALU_DEP_1) | instid1(SALU_CYCLE_1)
	v_cndmask_b32_e64 v2, v2, 0, s7
	s_delay_alu instid0(VALU_DEP_1)
	v_or_b32_e32 v41, v2, v47
.LBB4_551:                              ;   in Loop: Header=BB4_417 Depth=2
	s_or_b32 exec_lo, exec_lo, s19
                                        ; implicit-def: $vgpr47
.LBB4_552:                              ;   in Loop: Header=BB4_417 Depth=2
	s_and_not1_saveexec_b32 s7, s18
; %bb.553:                              ;   in Loop: Header=BB4_417 Depth=2
	v_or_b32_e32 v41, 0x7e, v47
; %bb.554:                              ;   in Loop: Header=BB4_417 Depth=2
	s_or_b32 exec_lo, exec_lo, s7
                                        ; implicit-def: $vgpr3
.LBB4_555:                              ;   in Loop: Header=BB4_417 Depth=2
	s_and_not1_saveexec_b32 s7, s17
; %bb.556:                              ;   in Loop: Header=BB4_417 Depth=2
	v_or_b32_e32 v41, 0x7f, v3
; %bb.557:                              ;   in Loop: Header=BB4_417 Depth=2
	s_or_b32 exec_lo, exec_lo, s7
	v_and_b32_e32 v54, 0xff, v4
	v_dual_mov_b32 v2, 0 :: v_dual_mov_b32 v3, 0
	s_mov_b32 s7, exec_lo
	s_delay_alu instid0(VALU_DEP_2)
	v_cmpx_ne_u16_e32 0, v54
	s_cbranch_execz .LBB4_563
; %bb.558:                              ;   in Loop: Header=BB4_417 Depth=2
	v_bfrev_b32_e32 v3, 1
	s_mov_b32 s17, exec_lo
	v_cmpx_ne_u16_e32 0x80, v54
	s_cbranch_execz .LBB4_562
; %bb.559:                              ;   in Loop: Header=BB4_417 Depth=2
	v_and_b32_e32 v54, 0x7f, v4
	v_mov_b32_e32 v3, 0x7f800001
	s_mov_b32 s18, exec_lo
	s_delay_alu instid0(VALU_DEP_2)
	v_cmpx_ne_u32_e32 0x7f, v54
	s_cbranch_execz .LBB4_561
; %bb.560:                              ;   in Loop: Header=BB4_417 Depth=2
	v_dual_lshrrev_b32 v118, 3, v54 :: v_dual_bitop2_b32 v3, 7, v4 bitop3:0x40
	v_cmp_gt_u32_e32 vcc_lo, 8, v54
	s_delay_alu instid0(VALU_DEP_2) | instskip(NEXT) | instid1(VALU_DEP_1)
	v_clz_i32_u32_e32 v3, v3
	v_min_u32_e32 v3, 32, v3
	s_delay_alu instid0(VALU_DEP_1) | instskip(SKIP_1) | instid1(VALU_DEP_2)
	v_subrev_nc_u32_e32 v119, 28, v3
	v_sub_nc_u32_e32 v3, 29, v3
	v_cndmask_b32_e32 v54, 0, v119, vcc_lo
	s_delay_alu instid0(VALU_DEP_2) | instskip(NEXT) | instid1(VALU_DEP_2)
	v_cndmask_b32_e32 v3, v118, v3, vcc_lo
	v_lshlrev_b64_e32 v[118:119], v54, v[4:5]
	v_lshlrev_b32_e32 v5, 24, v4
	s_delay_alu instid0(VALU_DEP_1) | instskip(NEXT) | instid1(VALU_DEP_3)
	v_and_b32_e32 v5, 0x80000000, v5
	v_lshlrev_b32_e32 v54, 20, v118
	v_lshl_add_u32 v3, v3, 23, 0x3c000000
	s_delay_alu instid0(VALU_DEP_2) | instskip(NEXT) | instid1(VALU_DEP_1)
	v_and_b32_e32 v54, 0x700000, v54
	v_or3_b32 v3, v54, v5, v3
.LBB4_561:                              ;   in Loop: Header=BB4_417 Depth=2
	s_or_b32 exec_lo, exec_lo, s18
.LBB4_562:                              ;   in Loop: Header=BB4_417 Depth=2
	s_delay_alu instid0(SALU_CYCLE_1)
	s_or_b32 exec_lo, exec_lo, s17
.LBB4_563:                              ;   in Loop: Header=BB4_417 Depth=2
	s_delay_alu instid0(SALU_CYCLE_1) | instskip(SKIP_2) | instid1(VALU_DEP_1)
	s_or_b32 exec_lo, exec_lo, s7
	v_alignbit_b32 v54, v44, v45, v46
	s_mov_b32 s7, exec_lo
	v_and_b32_e32 v5, 0xff, v54
	s_delay_alu instid0(VALU_DEP_1)
	v_cmpx_ne_u16_e32 0, v5
	s_cbranch_execz .LBB4_569
; %bb.564:                              ;   in Loop: Header=BB4_417 Depth=2
	v_bfrev_b32_e32 v2, 1
	s_mov_b32 s17, exec_lo
	v_cmpx_ne_u16_e32 0x80, v5
	s_cbranch_execz .LBB4_568
; %bb.565:                              ;   in Loop: Header=BB4_417 Depth=2
	v_and_b32_e32 v5, 0x7f, v54
	v_mov_b32_e32 v2, 0x7f800001
	s_mov_b32 s18, exec_lo
	s_delay_alu instid0(VALU_DEP_2)
	v_cmpx_ne_u32_e32 0x7f, v5
	s_cbranch_execz .LBB4_567
; %bb.566:                              ;   in Loop: Header=BB4_417 Depth=2
	v_dual_lshrrev_b32 v118, 3, v5 :: v_dual_bitop2_b32 v2, 7, v54 bitop3:0x40
	v_cmp_gt_u32_e32 vcc_lo, 8, v5
	s_delay_alu instid0(VALU_DEP_2) | instskip(NEXT) | instid1(VALU_DEP_1)
	v_clz_i32_u32_e32 v2, v2
	v_min_u32_e32 v2, 32, v2
	s_delay_alu instid0(VALU_DEP_1) | instskip(NEXT) | instid1(VALU_DEP_1)
	v_subrev_nc_u32_e32 v119, 28, v2
	v_dual_cndmask_b32 v5, 0, v119 :: v_dual_sub_nc_u32 v2, 29, v2
	s_delay_alu instid0(VALU_DEP_1) | instskip(NEXT) | instid1(VALU_DEP_2)
	v_cndmask_b32_e32 v2, v118, v2, vcc_lo
	v_lshlrev_b64_e32 v[118:119], v5, v[54:55]
	v_lshlrev_b32_e32 v5, 24, v54
	s_delay_alu instid0(VALU_DEP_3) | instskip(NEXT) | instid1(VALU_DEP_2)
	v_lshl_add_u32 v2, v2, 23, 0x3c000000
	v_and_b32_e32 v5, 0x80000000, v5
	s_delay_alu instid0(VALU_DEP_4) | instskip(NEXT) | instid1(VALU_DEP_1)
	v_lshlrev_b32_e32 v118, 20, v118
	v_and_b32_e32 v118, 0x700000, v118
	s_delay_alu instid0(VALU_DEP_1)
	v_or3_b32 v2, v118, v5, v2
.LBB4_567:                              ;   in Loop: Header=BB4_417 Depth=2
	s_or_b32 exec_lo, exec_lo, s18
.LBB4_568:                              ;   in Loop: Header=BB4_417 Depth=2
	s_delay_alu instid0(SALU_CYCLE_1)
	s_or_b32 exec_lo, exec_lo, s17
.LBB4_569:                              ;   in Loop: Header=BB4_417 Depth=2
	s_delay_alu instid0(SALU_CYCLE_1) | instskip(NEXT) | instid1(VALU_DEP_1)
	s_or_b32 exec_lo, exec_lo, s7
	v_add_f32_e32 v2, v3, v2
	v_mov_b32_e32 v119, v55
                                        ; implicit-def: $vgpr44
	s_mov_b32 s7, exec_lo
	s_delay_alu instid0(VALU_DEP_2) | instskip(SKIP_1) | instid1(VALU_DEP_2)
	v_and_b32_e32 v118, 0x7f800000, v2
	v_lshrrev_b32_e32 v3, 24, v2
	v_cmpx_ne_u64_e32 0x7f800000, v[118:119]
	s_xor_b32 s17, exec_lo, s7
	s_cbranch_execz .LBB4_583
; %bb.570:                              ;   in Loop: Header=BB4_417 Depth=2
	v_and_b32_e32 v118, 0x7fffffff, v2
	v_mov_b32_e32 v119, v55
	v_and_b32_e32 v5, 0x80, v3
                                        ; implicit-def: $vgpr44
	s_mov_b32 s7, exec_lo
	s_delay_alu instid0(VALU_DEP_2)
	v_cmpx_gt_u64_e32 0x43e00001, v[118:119]
	s_xor_b32 s18, exec_lo, s7
	s_cbranch_execz .LBB4_580
; %bb.571:                              ;   in Loop: Header=BB4_417 Depth=2
	v_mov_b32_e32 v44, 0
	s_mov_b32 s19, exec_lo
	v_cmpx_ne_u32_e32 0, v2
	s_cbranch_execz .LBB4_579
; %bb.572:                              ;   in Loop: Header=BB4_417 Depth=2
	v_bfe_u32 v44, v2, 23, 8
	v_and_b32_e32 v118, 0x7fffff, v2
	s_mov_b32 s20, exec_lo
	s_delay_alu instid0(VALU_DEP_2) | instskip(NEXT) | instid1(VALU_DEP_2)
	v_cmp_gt_u32_e32 vcc_lo, 0x7a, v44
	v_or_b32_e32 v119, 0x800000, v118
	v_sub_nc_u32_e32 v3, 0x79, v44
	s_delay_alu instid0(VALU_DEP_1) | instskip(SKIP_1) | instid1(VALU_DEP_2)
	v_cndmask_b32_e32 v3, 0, v3, vcc_lo
	v_cmp_eq_u32_e32 vcc_lo, 0, v44
	v_cndmask_b32_e64 v45, v3, 0x78, vcc_lo
	v_cndmask_b32_e32 v118, v119, v118, vcc_lo
	s_delay_alu instid0(VALU_DEP_2) | instskip(SKIP_1) | instid1(VALU_DEP_2)
	v_dual_mov_b32 v119, v55 :: v_dual_add_nc_u32 v46, 19, v45
	v_add_nc_u32_e32 v2, 20, v45
	v_lshlrev_b64_e64 v[46:47], v46, 1
	s_delay_alu instid0(VALU_DEP_2) | instskip(NEXT) | instid1(VALU_DEP_1)
	v_lshlrev_b64_e64 v[2:3], v2, -1
	v_bfi_b32 v59, v3, 0, 0
	s_delay_alu instid0(VALU_DEP_2) | instskip(SKIP_1) | instid1(VALU_DEP_1)
	v_bfi_b32 v58, v2, 0, v118
	v_lshrrev_b64 v[2:3], v45, v[118:119]
	v_mov_b64_e32 v[118:119], v[2:3]
	s_delay_alu instid0(VALU_DEP_3)
	v_cmpx_eq_u64_e64 v[58:59], v[46:47]
; %bb.573:                              ;   in Loop: Header=BB4_417 Depth=2
	v_bfe_u32 v118, v2, 20, 1
	v_mov_b32_e32 v119, v55
	s_delay_alu instid0(VALU_DEP_1) | instskip(NEXT) | instid1(VALU_DEP_1)
	v_add_nc_u64_e32 v[118:119], v[2:3], v[118:119]
	v_add_nc_u64_e32 v[118:119], -1, v[118:119]
; %bb.574:                              ;   in Loop: Header=BB4_417 Depth=2
	s_or_b32 exec_lo, exec_lo, s20
	v_add_nc_u32_e32 v3, 0xffffff81, v44
	v_lshrrev_b32_e32 v119, 23, v2
	s_mov_b32 s7, exec_lo
	s_delay_alu instid0(VALU_DEP_2) | instskip(NEXT) | instid1(VALU_DEP_1)
	v_cndmask_b32_e64 v3, v3, 0xffffff82, vcc_lo
	v_add3_u32 v119, v45, v3, v119
	v_and_b32_e32 v3, 0xfffff, v118
                                        ; implicit-def: $vgpr118
	s_delay_alu instid0(VALU_DEP_1) | instskip(SKIP_1) | instid1(VALU_DEP_2)
	v_dual_add_nc_u32 v44, 6, v119 :: v_dual_add_nc_u32 v2, v3, v2
	v_mov_b32_e32 v3, v55
	v_cmpx_ne_u32_e32 0, v44
	s_xor_b32 s7, exec_lo, s7
; %bb.575:                              ;   in Loop: Header=BB4_417 Depth=2
	s_delay_alu instid0(VALU_DEP_2) | instskip(SKIP_2) | instid1(VALU_DEP_2)
	v_cmp_lt_u64_e32 vcc_lo, 0xffffff, v[2:3]
	v_add_nc_u32_e32 v118, 7, v119
	v_cndmask_b32_e64 v119, 0, 1, vcc_lo
	v_cndmask_b32_e32 v118, v44, v118, vcc_lo
	s_delay_alu instid0(VALU_DEP_2)
	v_lshrrev_b64 v[2:3], v119, v[2:3]
; %bb.576:                              ;   in Loop: Header=BB4_417 Depth=2
	s_and_not1_saveexec_b32 s7, s7
; %bb.577:                              ;   in Loop: Header=BB4_417 Depth=2
	s_delay_alu instid0(VALU_DEP_1)
	v_bfe_u32 v118, v2, 23, 1
; %bb.578:                              ;   in Loop: Header=BB4_417 Depth=2
	s_or_b32 exec_lo, exec_lo, s7
	s_delay_alu instid0(VALU_DEP_2) | instskip(NEXT) | instid1(VALU_DEP_2)
	v_lshrrev_b64 v[2:3], 20, v[2:3]
	v_cmp_gt_i32_e32 vcc_lo, 16, v118
	v_min_i32_e32 v119, 15, v118
	v_cmp_eq_u32_e64 s7, 0, v118
	s_delay_alu instid0(VALU_DEP_4) | instskip(NEXT) | instid1(VALU_DEP_3)
	v_cndmask_b32_e32 v3, 0, v3, vcc_lo
	v_dual_cndmask_b32 v2, 7, v2 :: v_dual_lshlrev_b32 v119, 3, v119
	s_delay_alu instid0(VALU_DEP_1) | instskip(NEXT) | instid1(VALU_DEP_2)
	v_and_b32_e32 v119, 0xf8, v119
	v_cmp_eq_u64_e32 vcc_lo, 0, v[2:3]
	s_delay_alu instid0(VALU_DEP_2)
	v_and_or_b32 v2, v2, 7, v119
	s_and_b32 s7, s7, vcc_lo
	s_delay_alu instid0(VALU_DEP_1) | instid1(SALU_CYCLE_1)
	v_cndmask_b32_e64 v2, v2, 0, s7
	s_delay_alu instid0(VALU_DEP_1)
	v_or_b32_e32 v44, v2, v5
.LBB4_579:                              ;   in Loop: Header=BB4_417 Depth=2
	s_or_b32 exec_lo, exec_lo, s19
                                        ; implicit-def: $vgpr5
.LBB4_580:                              ;   in Loop: Header=BB4_417 Depth=2
	s_and_not1_saveexec_b32 s7, s18
; %bb.581:                              ;   in Loop: Header=BB4_417 Depth=2
	v_or_b32_e32 v44, 0x7e, v5
; %bb.582:                              ;   in Loop: Header=BB4_417 Depth=2
	s_or_b32 exec_lo, exec_lo, s7
                                        ; implicit-def: $vgpr3
.LBB4_583:                              ;   in Loop: Header=BB4_417 Depth=2
	s_and_not1_saveexec_b32 s7, s17
; %bb.584:                              ;   in Loop: Header=BB4_417 Depth=2
	v_or_b32_e32 v44, 0x7f, v3
; %bb.585:                              ;   in Loop: Header=BB4_417 Depth=2
	s_or_b32 exec_lo, exec_lo, s7
	v_lshrrev_b16 v2, 8, v4
	v_dual_mov_b32 v5, 0 :: v_dual_mov_b32 v118, 0
	s_mov_b32 s7, exec_lo
	s_delay_alu instid0(VALU_DEP_2)
	v_cmpx_ne_u16_e32 0, v2
	s_cbranch_execz .LBB4_593
; %bb.586:                              ;   in Loop: Header=BB4_417 Depth=2
	v_bfrev_b32_e32 v118, 1
	s_mov_b32 s17, exec_lo
	v_cmpx_ne_u16_e32 0x80, v2
	s_cbranch_execz .LBB4_592
; %bb.587:                              ;   in Loop: Header=BB4_417 Depth=2
	v_and_b32_e32 v2, 0xffff, v2
	v_mov_b32_e32 v118, 0x7f800001
	s_mov_b32 s18, exec_lo
	s_delay_alu instid0(VALU_DEP_2) | instskip(NEXT) | instid1(VALU_DEP_1)
	v_and_b32_e32 v119, 0x7f, v2
	v_cmpx_ne_u32_e32 0x7f, v119
	s_cbranch_execz .LBB4_591
; %bb.588:                              ;   in Loop: Header=BB4_417 Depth=2
	v_dual_mov_b32 v3, v55 :: v_dual_bitop2_b32 v2, 7, v2 bitop3:0x40
	v_lshrrev_b32_e32 v118, 3, v119
	s_mov_b32 s19, exec_lo
	v_cmpx_gt_u32_e32 8, v119
; %bb.589:                              ;   in Loop: Header=BB4_417 Depth=2
	s_delay_alu instid0(VALU_DEP_3) | instskip(NEXT) | instid1(VALU_DEP_1)
	v_clz_i32_u32_e32 v118, v2
	v_min_u32_e32 v118, 32, v118
	s_delay_alu instid0(VALU_DEP_1) | instskip(SKIP_1) | instid1(VALU_DEP_2)
	v_subrev_nc_u32_e32 v119, 28, v118
	v_sub_nc_u32_e32 v118, 29, v118
	v_lshlrev_b64_e32 v[2:3], v119, v[2:3]
	s_delay_alu instid0(VALU_DEP_1)
	v_and_b32_e32 v2, 7, v2
; %bb.590:                              ;   in Loop: Header=BB4_417 Depth=2
	s_or_b32 exec_lo, exec_lo, s19
	s_delay_alu instid0(VALU_DEP_1) | instskip(SKIP_1) | instid1(VALU_DEP_2)
	v_dual_lshlrev_b32 v3, 16, v4 :: v_dual_lshlrev_b32 v2, 20, v2
	v_lshl_add_u32 v118, v118, 23, 0x3c000000
	v_and_b32_e32 v3, 0x80000000, v3
	s_delay_alu instid0(VALU_DEP_1)
	v_or3_b32 v118, v2, v3, v118
.LBB4_591:                              ;   in Loop: Header=BB4_417 Depth=2
	s_or_b32 exec_lo, exec_lo, s18
.LBB4_592:                              ;   in Loop: Header=BB4_417 Depth=2
	s_delay_alu instid0(SALU_CYCLE_1)
	s_or_b32 exec_lo, exec_lo, s17
.LBB4_593:                              ;   in Loop: Header=BB4_417 Depth=2
	s_delay_alu instid0(SALU_CYCLE_1) | instskip(SKIP_2) | instid1(VALU_DEP_1)
	s_or_b32 exec_lo, exec_lo, s7
	v_lshrrev_b16 v2, 8, v54
	s_mov_b32 s7, exec_lo
	v_cmpx_ne_u16_e32 0, v2
	s_cbranch_execz .LBB4_601
; %bb.594:                              ;   in Loop: Header=BB4_417 Depth=2
	v_bfrev_b32_e32 v5, 1
	s_mov_b32 s17, exec_lo
	v_cmpx_ne_u16_e32 0x80, v2
	s_cbranch_execz .LBB4_600
; %bb.595:                              ;   in Loop: Header=BB4_417 Depth=2
	v_and_b32_e32 v2, 0xffff, v2
	v_mov_b32_e32 v5, 0x7f800001
	s_mov_b32 s18, exec_lo
	s_delay_alu instid0(VALU_DEP_2) | instskip(NEXT) | instid1(VALU_DEP_1)
	v_and_b32_e32 v119, 0x7f, v2
	v_cmpx_ne_u32_e32 0x7f, v119
	s_cbranch_execz .LBB4_599
; %bb.596:                              ;   in Loop: Header=BB4_417 Depth=2
	v_dual_mov_b32 v3, v55 :: v_dual_bitop2_b32 v2, 7, v2 bitop3:0x40
	v_lshrrev_b32_e32 v5, 3, v119
	s_mov_b32 s19, exec_lo
	v_cmpx_gt_u32_e32 8, v119
; %bb.597:                              ;   in Loop: Header=BB4_417 Depth=2
	s_delay_alu instid0(VALU_DEP_3) | instskip(NEXT) | instid1(VALU_DEP_1)
	v_clz_i32_u32_e32 v5, v2
	v_min_u32_e32 v5, 32, v5
	s_delay_alu instid0(VALU_DEP_1) | instskip(NEXT) | instid1(VALU_DEP_1)
	v_subrev_nc_u32_e32 v119, 28, v5
	v_lshlrev_b64_e32 v[2:3], v119, v[2:3]
	s_delay_alu instid0(VALU_DEP_1)
	v_dual_sub_nc_u32 v5, 29, v5 :: v_dual_bitop2_b32 v2, 7, v2 bitop3:0x40
; %bb.598:                              ;   in Loop: Header=BB4_417 Depth=2
	s_or_b32 exec_lo, exec_lo, s19
	v_lshlrev_b32_e32 v3, 16, v54
	s_delay_alu instid0(VALU_DEP_2) | instskip(NEXT) | instid1(VALU_DEP_3)
	v_lshlrev_b32_e32 v2, 20, v2
	v_lshl_add_u32 v5, v5, 23, 0x3c000000
	s_delay_alu instid0(VALU_DEP_3) | instskip(NEXT) | instid1(VALU_DEP_1)
	v_and_b32_e32 v3, 0x80000000, v3
	v_or3_b32 v5, v2, v3, v5
.LBB4_599:                              ;   in Loop: Header=BB4_417 Depth=2
	s_or_b32 exec_lo, exec_lo, s18
.LBB4_600:                              ;   in Loop: Header=BB4_417 Depth=2
	s_delay_alu instid0(SALU_CYCLE_1)
	s_or_b32 exec_lo, exec_lo, s17
.LBB4_601:                              ;   in Loop: Header=BB4_417 Depth=2
	s_delay_alu instid0(SALU_CYCLE_1) | instskip(NEXT) | instid1(VALU_DEP_1)
	s_or_b32 exec_lo, exec_lo, s7
	v_dual_add_f32 v2, v118, v5 :: v_dual_mov_b32 v119, v55
                                        ; implicit-def: $vgpr45
	s_mov_b32 s7, exec_lo
	s_delay_alu instid0(VALU_DEP_1) | instskip(SKIP_1) | instid1(VALU_DEP_2)
	v_and_b32_e32 v118, 0x7f800000, v2
	v_lshrrev_b32_e32 v3, 24, v2
	v_cmpx_ne_u64_e32 0x7f800000, v[118:119]
	s_xor_b32 s17, exec_lo, s7
	s_cbranch_execz .LBB4_615
; %bb.602:                              ;   in Loop: Header=BB4_417 Depth=2
	v_and_b32_e32 v118, 0x7fffffff, v2
	v_mov_b32_e32 v119, v55
	v_and_b32_e32 v5, 0x80, v3
                                        ; implicit-def: $vgpr45
	s_mov_b32 s7, exec_lo
	s_delay_alu instid0(VALU_DEP_2)
	v_cmpx_gt_u64_e32 0x43e00001, v[118:119]
	s_xor_b32 s18, exec_lo, s7
	s_cbranch_execz .LBB4_612
; %bb.603:                              ;   in Loop: Header=BB4_417 Depth=2
	v_mov_b32_e32 v45, 0
	s_mov_b32 s19, exec_lo
	v_cmpx_ne_u32_e32 0, v2
	s_cbranch_execz .LBB4_611
; %bb.604:                              ;   in Loop: Header=BB4_417 Depth=2
	v_bfe_u32 v45, v2, 23, 8
	v_and_b32_e32 v118, 0x7fffff, v2
	s_mov_b32 s20, exec_lo
	s_delay_alu instid0(VALU_DEP_2) | instskip(NEXT) | instid1(VALU_DEP_2)
	v_cmp_gt_u32_e32 vcc_lo, 0x7a, v45
	v_or_b32_e32 v119, 0x800000, v118
	v_sub_nc_u32_e32 v3, 0x79, v45
	s_delay_alu instid0(VALU_DEP_1) | instskip(SKIP_1) | instid1(VALU_DEP_2)
	v_cndmask_b32_e32 v3, 0, v3, vcc_lo
	v_cmp_eq_u32_e32 vcc_lo, 0, v45
	v_cndmask_b32_e64 v46, v3, 0x78, vcc_lo
	v_cndmask_b32_e32 v118, v119, v118, vcc_lo
	s_delay_alu instid0(VALU_DEP_2) | instskip(SKIP_1) | instid1(VALU_DEP_2)
	v_dual_mov_b32 v119, v55 :: v_dual_add_nc_u32 v47, 19, v46
	v_add_nc_u32_e32 v2, 20, v46
	v_lshlrev_b64_e64 v[58:59], v47, 1
	s_delay_alu instid0(VALU_DEP_2) | instskip(NEXT) | instid1(VALU_DEP_1)
	v_lshlrev_b64_e64 v[2:3], v2, -1
	v_bfi_b32 v61, v3, 0, 0
	s_delay_alu instid0(VALU_DEP_2) | instskip(SKIP_1) | instid1(VALU_DEP_1)
	v_bfi_b32 v60, v2, 0, v118
	v_lshrrev_b64 v[2:3], v46, v[118:119]
	v_mov_b64_e32 v[118:119], v[2:3]
	s_delay_alu instid0(VALU_DEP_3)
	v_cmpx_eq_u64_e64 v[60:61], v[58:59]
; %bb.605:                              ;   in Loop: Header=BB4_417 Depth=2
	v_bfe_u32 v118, v2, 20, 1
	v_mov_b32_e32 v119, v55
	s_delay_alu instid0(VALU_DEP_1) | instskip(NEXT) | instid1(VALU_DEP_1)
	v_add_nc_u64_e32 v[118:119], v[2:3], v[118:119]
	v_add_nc_u64_e32 v[118:119], -1, v[118:119]
; %bb.606:                              ;   in Loop: Header=BB4_417 Depth=2
	s_or_b32 exec_lo, exec_lo, s20
	v_add_nc_u32_e32 v3, 0xffffff81, v45
	v_lshrrev_b32_e32 v119, 23, v2
	s_mov_b32 s7, exec_lo
	s_delay_alu instid0(VALU_DEP_2) | instskip(NEXT) | instid1(VALU_DEP_1)
	v_cndmask_b32_e64 v3, v3, 0xffffff82, vcc_lo
	v_add3_u32 v119, v46, v3, v119
	v_and_b32_e32 v3, 0xfffff, v118
                                        ; implicit-def: $vgpr118
	s_delay_alu instid0(VALU_DEP_1) | instskip(SKIP_1) | instid1(VALU_DEP_2)
	v_dual_add_nc_u32 v45, 6, v119 :: v_dual_add_nc_u32 v2, v3, v2
	v_mov_b32_e32 v3, v55
	v_cmpx_ne_u32_e32 0, v45
	s_xor_b32 s7, exec_lo, s7
; %bb.607:                              ;   in Loop: Header=BB4_417 Depth=2
	s_delay_alu instid0(VALU_DEP_2) | instskip(SKIP_2) | instid1(VALU_DEP_2)
	v_cmp_lt_u64_e32 vcc_lo, 0xffffff, v[2:3]
	v_add_nc_u32_e32 v118, 7, v119
	v_cndmask_b32_e64 v119, 0, 1, vcc_lo
	v_cndmask_b32_e32 v118, v45, v118, vcc_lo
	s_delay_alu instid0(VALU_DEP_2)
	v_lshrrev_b64 v[2:3], v119, v[2:3]
; %bb.608:                              ;   in Loop: Header=BB4_417 Depth=2
	s_and_not1_saveexec_b32 s7, s7
; %bb.609:                              ;   in Loop: Header=BB4_417 Depth=2
	s_delay_alu instid0(VALU_DEP_1)
	v_bfe_u32 v118, v2, 23, 1
; %bb.610:                              ;   in Loop: Header=BB4_417 Depth=2
	s_or_b32 exec_lo, exec_lo, s7
	s_delay_alu instid0(VALU_DEP_2) | instskip(NEXT) | instid1(VALU_DEP_2)
	v_lshrrev_b64 v[2:3], 20, v[2:3]
	v_cmp_gt_i32_e32 vcc_lo, 16, v118
	v_min_i32_e32 v119, 15, v118
	v_cmp_eq_u32_e64 s7, 0, v118
	s_delay_alu instid0(VALU_DEP_4) | instskip(NEXT) | instid1(VALU_DEP_3)
	v_cndmask_b32_e32 v3, 0, v3, vcc_lo
	v_dual_cndmask_b32 v2, 7, v2 :: v_dual_lshlrev_b32 v119, 3, v119
	s_delay_alu instid0(VALU_DEP_1) | instskip(NEXT) | instid1(VALU_DEP_2)
	v_and_b32_e32 v119, 0xf8, v119
	v_cmp_eq_u64_e32 vcc_lo, 0, v[2:3]
	s_delay_alu instid0(VALU_DEP_2)
	v_and_or_b32 v2, v2, 7, v119
	s_and_b32 s7, s7, vcc_lo
	s_delay_alu instid0(VALU_DEP_1) | instid1(SALU_CYCLE_1)
	v_cndmask_b32_e64 v2, v2, 0, s7
	s_delay_alu instid0(VALU_DEP_1)
	v_or_b32_e32 v45, v2, v5
.LBB4_611:                              ;   in Loop: Header=BB4_417 Depth=2
	s_or_b32 exec_lo, exec_lo, s19
                                        ; implicit-def: $vgpr5
.LBB4_612:                              ;   in Loop: Header=BB4_417 Depth=2
	s_and_not1_saveexec_b32 s7, s18
; %bb.613:                              ;   in Loop: Header=BB4_417 Depth=2
	v_or_b32_e32 v45, 0x7e, v5
; %bb.614:                              ;   in Loop: Header=BB4_417 Depth=2
	s_or_b32 exec_lo, exec_lo, s7
                                        ; implicit-def: $vgpr3
.LBB4_615:                              ;   in Loop: Header=BB4_417 Depth=2
	s_and_not1_saveexec_b32 s7, s17
; %bb.616:                              ;   in Loop: Header=BB4_417 Depth=2
	v_or_b32_e32 v45, 0x7f, v3
; %bb.617:                              ;   in Loop: Header=BB4_417 Depth=2
	s_or_b32 exec_lo, exec_lo, s7
	v_dual_lshrrev_b32 v119, 16, v4 :: v_dual_mov_b32 v5, 0
	v_mov_b32_e32 v118, 0
	s_mov_b32 s7, exec_lo
	s_delay_alu instid0(VALU_DEP_2) | instskip(NEXT) | instid1(VALU_DEP_1)
	v_and_b32_e32 v2, 0xff, v119
	v_cmpx_ne_u16_e32 0, v2
	s_cbranch_execz .LBB4_625
; %bb.618:                              ;   in Loop: Header=BB4_417 Depth=2
	v_bfrev_b32_e32 v118, 1
	s_mov_b32 s17, exec_lo
	v_cmpx_ne_u16_e32 0x80, v2
	s_cbranch_execz .LBB4_624
; %bb.619:                              ;   in Loop: Header=BB4_417 Depth=2
	v_bfe_u32 v46, v4, 16, 7
	v_mov_b32_e32 v118, 0x7f800001
	s_mov_b32 s18, exec_lo
	s_delay_alu instid0(VALU_DEP_2)
	v_cmpx_ne_u32_e32 0x7f, v46
	s_cbranch_execz .LBB4_623
; %bb.620:                              ;   in Loop: Header=BB4_417 Depth=2
	v_dual_mov_b32 v3, v55 :: v_dual_bitop2_b32 v2, 7, v119 bitop3:0x40
	v_lshrrev_b32_e32 v118, 3, v46
	s_mov_b32 s19, exec_lo
	v_cmpx_gt_u32_e32 8, v46
; %bb.621:                              ;   in Loop: Header=BB4_417 Depth=2
	s_delay_alu instid0(VALU_DEP_3) | instskip(NEXT) | instid1(VALU_DEP_1)
	v_clz_i32_u32_e32 v118, v2
	v_min_u32_e32 v118, 32, v118
	s_delay_alu instid0(VALU_DEP_1) | instskip(SKIP_1) | instid1(VALU_DEP_2)
	v_subrev_nc_u32_e32 v46, 28, v118
	v_sub_nc_u32_e32 v118, 29, v118
	v_lshlrev_b64_e32 v[2:3], v46, v[2:3]
	s_delay_alu instid0(VALU_DEP_1)
	v_and_b32_e32 v2, 7, v2
; %bb.622:                              ;   in Loop: Header=BB4_417 Depth=2
	s_or_b32 exec_lo, exec_lo, s19
	s_delay_alu instid0(VALU_DEP_1) | instskip(SKIP_1) | instid1(VALU_DEP_2)
	v_dual_lshlrev_b32 v3, 24, v119 :: v_dual_lshlrev_b32 v2, 20, v2
	v_lshl_add_u32 v118, v118, 23, 0x3c000000
	v_and_b32_e32 v3, 0x80000000, v3
	s_delay_alu instid0(VALU_DEP_1)
	v_or3_b32 v118, v2, v3, v118
.LBB4_623:                              ;   in Loop: Header=BB4_417 Depth=2
	s_or_b32 exec_lo, exec_lo, s18
.LBB4_624:                              ;   in Loop: Header=BB4_417 Depth=2
	s_delay_alu instid0(SALU_CYCLE_1)
	s_or_b32 exec_lo, exec_lo, s17
.LBB4_625:                              ;   in Loop: Header=BB4_417 Depth=2
	s_delay_alu instid0(SALU_CYCLE_1) | instskip(SKIP_2) | instid1(VALU_DEP_1)
	s_or_b32 exec_lo, exec_lo, s7
	v_lshrrev_b32_e32 v2, 16, v54
	s_mov_b32 s7, exec_lo
	v_and_b32_e32 v3, 0xff, v2
	s_delay_alu instid0(VALU_DEP_1)
	v_cmpx_ne_u16_e32 0, v3
	s_cbranch_execz .LBB4_633
; %bb.626:                              ;   in Loop: Header=BB4_417 Depth=2
	v_bfrev_b32_e32 v5, 1
	s_mov_b32 s17, exec_lo
	v_cmpx_ne_u16_e32 0x80, v3
	s_cbranch_execz .LBB4_632
; %bb.627:                              ;   in Loop: Header=BB4_417 Depth=2
	v_bfe_u32 v119, v54, 16, 7
	v_mov_b32_e32 v5, 0x7f800001
	s_mov_b32 s18, exec_lo
	s_delay_alu instid0(VALU_DEP_2)
	v_cmpx_ne_u32_e32 0x7f, v119
	s_cbranch_execz .LBB4_631
; %bb.628:                              ;   in Loop: Header=BB4_417 Depth=2
	v_dual_mov_b32 v3, v55 :: v_dual_bitop2_b32 v2, 7, v2 bitop3:0x40
	v_lshrrev_b32_e32 v5, 3, v119
	s_mov_b32 s19, exec_lo
	v_cmpx_gt_u32_e32 8, v119
; %bb.629:                              ;   in Loop: Header=BB4_417 Depth=2
	s_delay_alu instid0(VALU_DEP_3) | instskip(NEXT) | instid1(VALU_DEP_1)
	v_clz_i32_u32_e32 v5, v2
	v_min_u32_e32 v5, 32, v5
	s_delay_alu instid0(VALU_DEP_1) | instskip(NEXT) | instid1(VALU_DEP_1)
	v_subrev_nc_u32_e32 v119, 28, v5
	v_lshlrev_b64_e32 v[2:3], v119, v[2:3]
	s_delay_alu instid0(VALU_DEP_1)
	v_dual_sub_nc_u32 v5, 29, v5 :: v_dual_bitop2_b32 v2, 7, v2 bitop3:0x40
; %bb.630:                              ;   in Loop: Header=BB4_417 Depth=2
	s_or_b32 exec_lo, exec_lo, s19
	v_lshlrev_b32_e32 v3, 8, v54
	s_delay_alu instid0(VALU_DEP_2) | instskip(NEXT) | instid1(VALU_DEP_3)
	v_lshlrev_b32_e32 v2, 20, v2
	v_lshl_add_u32 v5, v5, 23, 0x3c000000
	s_delay_alu instid0(VALU_DEP_3) | instskip(NEXT) | instid1(VALU_DEP_1)
	v_and_b32_e32 v3, 0x80000000, v3
	v_or3_b32 v5, v2, v3, v5
.LBB4_631:                              ;   in Loop: Header=BB4_417 Depth=2
	s_or_b32 exec_lo, exec_lo, s18
.LBB4_632:                              ;   in Loop: Header=BB4_417 Depth=2
	s_delay_alu instid0(SALU_CYCLE_1)
	s_or_b32 exec_lo, exec_lo, s17
.LBB4_633:                              ;   in Loop: Header=BB4_417 Depth=2
	s_delay_alu instid0(SALU_CYCLE_1) | instskip(NEXT) | instid1(VALU_DEP_1)
	s_or_b32 exec_lo, exec_lo, s7
	v_dual_add_f32 v2, v118, v5 :: v_dual_mov_b32 v119, v55
	s_delay_alu instid0(VALU_DEP_1) | instskip(SKIP_1) | instid1(VALU_DEP_2)
	v_and_b32_e32 v118, 0x7f800000, v2
	v_lshrrev_b32_e32 v3, 24, v2
	v_cmp_ne_u64_e32 vcc_lo, 0x7f800000, v[118:119]
                                        ; implicit-def: $vgpr118
	s_and_saveexec_b32 s7, vcc_lo
	s_delay_alu instid0(SALU_CYCLE_1)
	s_xor_b32 s17, exec_lo, s7
	s_cbranch_execz .LBB4_647
; %bb.634:                              ;   in Loop: Header=BB4_417 Depth=2
	v_and_b32_e32 v118, 0x7fffffff, v2
	v_mov_b32_e32 v119, v55
	v_and_b32_e32 v5, 0x80, v3
	s_delay_alu instid0(VALU_DEP_2) | instskip(SKIP_1) | instid1(SALU_CYCLE_1)
	v_cmp_gt_u64_e32 vcc_lo, 0x43e00001, v[118:119]
                                        ; implicit-def: $vgpr118
	s_and_saveexec_b32 s7, vcc_lo
	s_xor_b32 s18, exec_lo, s7
	s_cbranch_execz .LBB4_644
; %bb.635:                              ;   in Loop: Header=BB4_417 Depth=2
	v_mov_b32_e32 v118, 0
	s_mov_b32 s19, exec_lo
	v_cmpx_ne_u32_e32 0, v2
	s_cbranch_execz .LBB4_643
; %bb.636:                              ;   in Loop: Header=BB4_417 Depth=2
	v_bfe_u32 v46, v2, 23, 8
	v_and_b32_e32 v118, 0x7fffff, v2
	s_mov_b32 s20, exec_lo
	s_delay_alu instid0(VALU_DEP_2) | instskip(SKIP_1) | instid1(VALU_DEP_3)
	v_sub_nc_u32_e32 v3, 0x79, v46
	v_cmp_gt_u32_e32 vcc_lo, 0x7a, v46
	v_or_b32_e32 v119, 0x800000, v118
	s_delay_alu instid0(VALU_DEP_3) | instskip(SKIP_1) | instid1(VALU_DEP_3)
	v_cndmask_b32_e32 v3, 0, v3, vcc_lo
	v_cmp_eq_u32_e32 vcc_lo, 0, v46
	v_cndmask_b32_e32 v118, v119, v118, vcc_lo
	s_delay_alu instid0(VALU_DEP_3) | instskip(NEXT) | instid1(VALU_DEP_1)
	v_cndmask_b32_e64 v47, v3, 0x78, vcc_lo
	v_dual_mov_b32 v119, v55 :: v_dual_add_nc_u32 v2, 20, v47
	v_add_nc_u32_e32 v58, 19, v47
	s_delay_alu instid0(VALU_DEP_2) | instskip(NEXT) | instid1(VALU_DEP_2)
	v_lshlrev_b64_e64 v[2:3], v2, -1
	v_lshlrev_b64_e64 v[58:59], v58, 1
	s_delay_alu instid0(VALU_DEP_2) | instskip(NEXT) | instid1(VALU_DEP_3)
	v_bfi_b32 v61, v3, 0, 0
	v_bfi_b32 v60, v2, 0, v118
	v_lshrrev_b64 v[2:3], v47, v[118:119]
	s_delay_alu instid0(VALU_DEP_1) | instskip(NEXT) | instid1(VALU_DEP_3)
	v_mov_b64_e32 v[118:119], v[2:3]
	v_cmpx_eq_u64_e64 v[60:61], v[58:59]
; %bb.637:                              ;   in Loop: Header=BB4_417 Depth=2
	v_bfe_u32 v118, v2, 20, 1
	v_mov_b32_e32 v119, v55
	s_delay_alu instid0(VALU_DEP_1) | instskip(NEXT) | instid1(VALU_DEP_1)
	v_add_nc_u64_e32 v[118:119], v[2:3], v[118:119]
	v_add_nc_u64_e32 v[118:119], -1, v[118:119]
; %bb.638:                              ;   in Loop: Header=BB4_417 Depth=2
	s_or_b32 exec_lo, exec_lo, s20
	v_add_nc_u32_e32 v3, 0xffffff81, v46
	v_lshrrev_b32_e32 v119, 23, v2
	s_mov_b32 s7, exec_lo
	s_delay_alu instid0(VALU_DEP_2) | instskip(NEXT) | instid1(VALU_DEP_1)
	v_cndmask_b32_e64 v3, v3, 0xffffff82, vcc_lo
	v_add3_u32 v119, v47, v3, v119
	v_and_b32_e32 v3, 0xfffff, v118
                                        ; implicit-def: $vgpr118
	s_delay_alu instid0(VALU_DEP_1) | instskip(SKIP_1) | instid1(VALU_DEP_2)
	v_dual_add_nc_u32 v46, 6, v119 :: v_dual_add_nc_u32 v2, v3, v2
	v_mov_b32_e32 v3, v55
	v_cmpx_ne_u32_e32 0, v46
	s_xor_b32 s7, exec_lo, s7
; %bb.639:                              ;   in Loop: Header=BB4_417 Depth=2
	s_delay_alu instid0(VALU_DEP_2) | instskip(SKIP_2) | instid1(VALU_DEP_2)
	v_cmp_lt_u64_e32 vcc_lo, 0xffffff, v[2:3]
	v_add_nc_u32_e32 v118, 7, v119
	v_cndmask_b32_e64 v119, 0, 1, vcc_lo
	v_cndmask_b32_e32 v118, v46, v118, vcc_lo
	s_delay_alu instid0(VALU_DEP_2)
	v_lshrrev_b64 v[2:3], v119, v[2:3]
; %bb.640:                              ;   in Loop: Header=BB4_417 Depth=2
	s_and_not1_saveexec_b32 s7, s7
; %bb.641:                              ;   in Loop: Header=BB4_417 Depth=2
	s_delay_alu instid0(VALU_DEP_1)
	v_bfe_u32 v118, v2, 23, 1
; %bb.642:                              ;   in Loop: Header=BB4_417 Depth=2
	s_or_b32 exec_lo, exec_lo, s7
	s_delay_alu instid0(VALU_DEP_2) | instskip(NEXT) | instid1(VALU_DEP_2)
	v_lshrrev_b64 v[2:3], 20, v[2:3]
	v_cmp_gt_i32_e32 vcc_lo, 16, v118
	v_min_i32_e32 v119, 15, v118
	v_cmp_eq_u32_e64 s7, 0, v118
	s_delay_alu instid0(VALU_DEP_4) | instskip(NEXT) | instid1(VALU_DEP_3)
	v_cndmask_b32_e32 v3, 0, v3, vcc_lo
	v_dual_cndmask_b32 v2, 7, v2 :: v_dual_lshlrev_b32 v119, 3, v119
	s_delay_alu instid0(VALU_DEP_1) | instskip(NEXT) | instid1(VALU_DEP_2)
	v_and_b32_e32 v119, 0xf8, v119
	v_cmp_eq_u64_e32 vcc_lo, 0, v[2:3]
	s_delay_alu instid0(VALU_DEP_2)
	v_and_or_b32 v2, v2, 7, v119
	s_and_b32 s7, s7, vcc_lo
	s_delay_alu instid0(VALU_DEP_1) | instid1(SALU_CYCLE_1)
	v_cndmask_b32_e64 v2, v2, 0, s7
	s_delay_alu instid0(VALU_DEP_1)
	v_or_b32_e32 v118, v2, v5
.LBB4_643:                              ;   in Loop: Header=BB4_417 Depth=2
	s_or_b32 exec_lo, exec_lo, s19
                                        ; implicit-def: $vgpr5
.LBB4_644:                              ;   in Loop: Header=BB4_417 Depth=2
	s_and_not1_saveexec_b32 s7, s18
; %bb.645:                              ;   in Loop: Header=BB4_417 Depth=2
	v_or_b32_e32 v118, 0x7e, v5
; %bb.646:                              ;   in Loop: Header=BB4_417 Depth=2
	s_or_b32 exec_lo, exec_lo, s7
                                        ; implicit-def: $vgpr3
.LBB4_647:                              ;   in Loop: Header=BB4_417 Depth=2
	s_and_not1_saveexec_b32 s7, s17
; %bb.648:                              ;   in Loop: Header=BB4_417 Depth=2
	v_or_b32_e32 v118, 0x7f, v3
; %bb.649:                              ;   in Loop: Header=BB4_417 Depth=2
	s_or_b32 exec_lo, exec_lo, s7
	v_and_b32_e32 v2, 0xff000000, v4
	v_dual_mov_b32 v3, v55 :: v_dual_mov_b32 v5, 0
	s_delay_alu instid0(VALU_DEP_1)
	v_cmp_ne_u64_e32 vcc_lo, 0, v[2:3]
	v_mov_b32_e32 v2, 0
	s_and_saveexec_b32 s7, vcc_lo
	s_cbranch_execz .LBB4_657
; %bb.650:                              ;   in Loop: Header=BB4_417 Depth=2
	v_lshrrev_b32_e32 v119, 24, v4
	v_bfrev_b32_e32 v2, 1
	s_mov_b32 s17, exec_lo
	s_delay_alu instid0(VALU_DEP_2)
	v_cmpx_ne_u32_e32 0x80, v119
	s_cbranch_execz .LBB4_656
; %bb.651:                              ;   in Loop: Header=BB4_417 Depth=2
	v_bfe_u32 v46, v4, 24, 7
	v_mov_b32_e32 v2, 0x7f800001
	s_mov_b32 s18, exec_lo
	s_delay_alu instid0(VALU_DEP_2)
	v_cmpx_ne_u32_e32 0x7f, v46
	s_cbranch_execz .LBB4_655
; %bb.652:                              ;   in Loop: Header=BB4_417 Depth=2
	v_dual_mov_b32 v3, v55 :: v_dual_bitop2_b32 v2, 7, v119 bitop3:0x40
	v_lshrrev_b32_e32 v4, 3, v46
	s_mov_b32 s19, exec_lo
	v_cmpx_gt_u32_e32 8, v46
; %bb.653:                              ;   in Loop: Header=BB4_417 Depth=2
	s_delay_alu instid0(VALU_DEP_3) | instskip(NEXT) | instid1(VALU_DEP_1)
	v_clz_i32_u32_e32 v4, v2
	v_min_u32_e32 v4, 32, v4
	s_delay_alu instid0(VALU_DEP_1) | instskip(NEXT) | instid1(VALU_DEP_1)
	v_subrev_nc_u32_e32 v46, 28, v4
	v_lshlrev_b64_e32 v[2:3], v46, v[2:3]
	s_delay_alu instid0(VALU_DEP_1)
	v_dual_sub_nc_u32 v4, 29, v4 :: v_dual_bitop2_b32 v2, 7, v2 bitop3:0x40
; %bb.654:                              ;   in Loop: Header=BB4_417 Depth=2
	s_or_b32 exec_lo, exec_lo, s19
	s_delay_alu instid0(VALU_DEP_1) | instskip(NEXT) | instid1(VALU_DEP_2)
	v_dual_lshlrev_b32 v3, 24, v119 :: v_dual_lshlrev_b32 v2, 20, v2
	v_lshl_add_u32 v4, v4, 23, 0x3c000000
	s_delay_alu instid0(VALU_DEP_2) | instskip(NEXT) | instid1(VALU_DEP_1)
	v_and_b32_e32 v3, 0x80000000, v3
	v_or3_b32 v2, v2, v3, v4
.LBB4_655:                              ;   in Loop: Header=BB4_417 Depth=2
	s_or_b32 exec_lo, exec_lo, s18
.LBB4_656:                              ;   in Loop: Header=BB4_417 Depth=2
	s_delay_alu instid0(SALU_CYCLE_1)
	s_or_b32 exec_lo, exec_lo, s17
.LBB4_657:                              ;   in Loop: Header=BB4_417 Depth=2
	s_delay_alu instid0(SALU_CYCLE_1) | instskip(NEXT) | instid1(SALU_CYCLE_1)
	s_or_b32 exec_lo, exec_lo, s7
	s_mov_b32 s7, exec_lo
	v_cmpx_lt_u32_e32 0xffffff, v54
	s_cbranch_execz .LBB4_665
; %bb.658:                              ;   in Loop: Header=BB4_417 Depth=2
	v_lshrrev_b32_e32 v3, 24, v54
	v_bfrev_b32_e32 v5, 1
	s_mov_b32 s17, exec_lo
	s_delay_alu instid0(VALU_DEP_2)
	v_cmpx_ne_u32_e32 0x80, v3
	s_cbranch_execz .LBB4_664
; %bb.659:                              ;   in Loop: Header=BB4_417 Depth=2
	v_bfe_u32 v119, v54, 24, 7
	v_mov_b32_e32 v5, 0x7f800001
	s_mov_b32 s18, exec_lo
	s_delay_alu instid0(VALU_DEP_2)
	v_cmpx_ne_u32_e32 0x7f, v119
	s_cbranch_execz .LBB4_663
; %bb.660:                              ;   in Loop: Header=BB4_417 Depth=2
	v_and_b32_e32 v54, 7, v3
	v_lshrrev_b32_e32 v4, 3, v119
	s_mov_b32 s19, exec_lo
	v_cmpx_gt_u32_e32 8, v119
; %bb.661:                              ;   in Loop: Header=BB4_417 Depth=2
	s_delay_alu instid0(VALU_DEP_3) | instskip(NEXT) | instid1(VALU_DEP_1)
	v_clz_i32_u32_e32 v4, v54
	v_min_u32_e32 v4, 32, v4
	s_delay_alu instid0(VALU_DEP_1) | instskip(NEXT) | instid1(VALU_DEP_1)
	v_subrev_nc_u32_e32 v5, 28, v4
	v_lshlrev_b64_e32 v[46:47], v5, v[54:55]
	s_delay_alu instid0(VALU_DEP_1)
	v_dual_sub_nc_u32 v4, 29, v4 :: v_dual_bitop2_b32 v54, 7, v46 bitop3:0x40
; %bb.662:                              ;   in Loop: Header=BB4_417 Depth=2
	s_or_b32 exec_lo, exec_lo, s19
	s_delay_alu instid0(VALU_DEP_1) | instskip(NEXT) | instid1(VALU_DEP_2)
	v_dual_lshlrev_b32 v3, 24, v3 :: v_dual_lshlrev_b32 v5, 20, v54
	v_lshl_add_u32 v4, v4, 23, 0x3c000000
	s_delay_alu instid0(VALU_DEP_2) | instskip(NEXT) | instid1(VALU_DEP_1)
	v_and_b32_e32 v3, 0x80000000, v3
	v_or3_b32 v5, v5, v3, v4
.LBB4_663:                              ;   in Loop: Header=BB4_417 Depth=2
	s_or_b32 exec_lo, exec_lo, s18
.LBB4_664:                              ;   in Loop: Header=BB4_417 Depth=2
	s_delay_alu instid0(SALU_CYCLE_1)
	s_or_b32 exec_lo, exec_lo, s17
.LBB4_665:                              ;   in Loop: Header=BB4_417 Depth=2
	s_delay_alu instid0(SALU_CYCLE_1) | instskip(NEXT) | instid1(VALU_DEP_1)
	s_or_b32 exec_lo, exec_lo, s7
	v_add_f32_e32 v3, v2, v5
                                        ; implicit-def: $vgpr2
	s_mov_b32 s7, exec_lo
	s_delay_alu instid0(VALU_DEP_1) | instskip(SKIP_1) | instid1(VALU_DEP_2)
	v_and_b32_e32 v54, 0x7f800000, v3
	v_lshrrev_b32_e32 v4, 24, v3
	v_cmpx_ne_u64_e32 0x7f800000, v[54:55]
	s_xor_b32 s17, exec_lo, s7
	s_cbranch_execz .LBB4_679
; %bb.666:                              ;   in Loop: Header=BB4_417 Depth=2
	v_and_b32_e32 v54, 0x7fffffff, v3
	v_and_b32_e32 v119, 0x80, v4
                                        ; implicit-def: $vgpr2
	s_mov_b32 s7, exec_lo
	s_delay_alu instid0(VALU_DEP_2)
	v_cmpx_gt_u64_e32 0x43e00001, v[54:55]
	s_xor_b32 s18, exec_lo, s7
	s_cbranch_execz .LBB4_676
; %bb.667:                              ;   in Loop: Header=BB4_417 Depth=2
	v_mov_b32_e32 v2, 0
	s_mov_b32 s19, exec_lo
	v_cmpx_ne_u32_e32 0, v3
	s_cbranch_execz .LBB4_675
; %bb.668:                              ;   in Loop: Header=BB4_417 Depth=2
	v_bfe_u32 v46, v3, 23, 8
	v_and_b32_e32 v4, 0x7fffff, v3
	s_delay_alu instid0(VALU_DEP_2) | instskip(SKIP_1) | instid1(VALU_DEP_3)
	v_sub_nc_u32_e32 v2, 0x79, v46
	v_cmp_gt_u32_e32 vcc_lo, 0x7a, v46
	v_or_b32_e32 v5, 0x800000, v4
	s_delay_alu instid0(VALU_DEP_3) | instskip(SKIP_1) | instid1(VALU_DEP_2)
	v_cndmask_b32_e32 v2, 0, v2, vcc_lo
	v_cmp_eq_u32_e32 vcc_lo, 0, v46
	v_cndmask_b32_e64 v47, v2, 0x78, vcc_lo
	s_delay_alu instid0(VALU_DEP_1) | instskip(SKIP_1) | instid1(VALU_DEP_2)
	v_dual_cndmask_b32 v54, v5, v4, vcc_lo :: v_dual_add_nc_u32 v2, 20, v47
	v_add_nc_u32_e32 v58, 19, v47
	v_lshlrev_b64_e64 v[2:3], v2, -1
	s_delay_alu instid0(VALU_DEP_2) | instskip(NEXT) | instid1(VALU_DEP_2)
	v_lshlrev_b64_e64 v[4:5], v58, 1
	v_bfi_b32 v59, v3, 0, 0
	s_delay_alu instid0(VALU_DEP_3) | instskip(SKIP_1) | instid1(VALU_DEP_2)
	v_bfi_b32 v58, v2, 0, v54
	v_lshrrev_b64 v[2:3], v47, v[54:55]
	v_cmp_eq_u64_e64 s7, v[58:59], v[4:5]
	s_delay_alu instid0(VALU_DEP_2)
	v_mov_b64_e32 v[4:5], v[2:3]
	s_and_saveexec_b32 s20, s7
; %bb.669:                              ;   in Loop: Header=BB4_417 Depth=2
	v_bfe_u32 v54, v2, 20, 1
	s_delay_alu instid0(VALU_DEP_1) | instskip(NEXT) | instid1(VALU_DEP_1)
	v_add_nc_u64_e32 v[4:5], v[2:3], v[54:55]
	v_add_nc_u64_e32 v[4:5], -1, v[4:5]
; %bb.670:                              ;   in Loop: Header=BB4_417 Depth=2
	s_or_b32 exec_lo, exec_lo, s20
	v_add_nc_u32_e32 v3, 0xffffff81, v46
	v_lshrrev_b32_e32 v5, 23, v2
	s_mov_b32 s7, exec_lo
	s_delay_alu instid0(VALU_DEP_2) | instskip(NEXT) | instid1(VALU_DEP_1)
	v_cndmask_b32_e64 v3, v3, 0xffffff82, vcc_lo
	v_add3_u32 v5, v47, v3, v5
	v_and_b32_e32 v3, 0xfffff, v4
                                        ; implicit-def: $vgpr4
	s_delay_alu instid0(VALU_DEP_1) | instskip(NEXT) | instid1(VALU_DEP_1)
	v_dual_add_nc_u32 v46, 6, v5 :: v_dual_add_nc_u32 v54, v3, v2
                                        ; implicit-def: $vgpr2_vgpr3
	v_cmpx_ne_u32_e32 0, v46
	s_xor_b32 s7, exec_lo, s7
; %bb.671:                              ;   in Loop: Header=BB4_417 Depth=2
	s_delay_alu instid0(VALU_DEP_2) | instskip(SKIP_1) | instid1(VALU_DEP_1)
	v_cmp_lt_u64_e32 vcc_lo, 0xffffff, v[54:55]
	v_add_nc_u32_e32 v2, 7, v5
	v_cndmask_b32_e32 v4, v46, v2, vcc_lo
	v_cndmask_b32_e64 v2, 0, 1, vcc_lo
	s_delay_alu instid0(VALU_DEP_1)
	v_lshrrev_b64 v[2:3], v2, v[54:55]
; %bb.672:                              ;   in Loop: Header=BB4_417 Depth=2
	s_and_not1_saveexec_b32 s7, s7
; %bb.673:                              ;   in Loop: Header=BB4_417 Depth=2
	v_mov_b64_e32 v[2:3], v[54:55]
	v_bfe_u32 v4, v54, 23, 1
; %bb.674:                              ;   in Loop: Header=BB4_417 Depth=2
	s_or_b32 exec_lo, exec_lo, s7
	s_delay_alu instid0(VALU_DEP_2) | instskip(NEXT) | instid1(VALU_DEP_2)
	v_lshrrev_b64 v[2:3], 20, v[2:3]
	v_cmp_gt_i32_e32 vcc_lo, 16, v4
	v_min_i32_e32 v5, 15, v4
	v_cmp_eq_u32_e64 s7, 0, v4
	s_delay_alu instid0(VALU_DEP_2) | instskip(SKIP_1) | instid1(VALU_DEP_2)
	v_dual_cndmask_b32 v3, 0, v3, vcc_lo :: v_dual_lshlrev_b32 v5, 3, v5
	v_cndmask_b32_e32 v2, 7, v2, vcc_lo
	v_and_b32_e32 v5, 0xf8, v5
	s_delay_alu instid0(VALU_DEP_2) | instskip(NEXT) | instid1(VALU_DEP_2)
	v_cmp_eq_u64_e32 vcc_lo, 0, v[2:3]
	v_and_or_b32 v2, v2, 7, v5
	s_and_b32 s7, s7, vcc_lo
	s_delay_alu instid0(VALU_DEP_1) | instid1(SALU_CYCLE_1)
	v_cndmask_b32_e64 v2, v2, 0, s7
	s_delay_alu instid0(VALU_DEP_1)
	v_or_b32_e32 v2, v2, v119
.LBB4_675:                              ;   in Loop: Header=BB4_417 Depth=2
	s_or_b32 exec_lo, exec_lo, s19
                                        ; implicit-def: $vgpr119
.LBB4_676:                              ;   in Loop: Header=BB4_417 Depth=2
	s_and_not1_saveexec_b32 s7, s18
; %bb.677:                              ;   in Loop: Header=BB4_417 Depth=2
	v_or_b32_e32 v2, 0x7e, v119
; %bb.678:                              ;   in Loop: Header=BB4_417 Depth=2
	s_or_b32 exec_lo, exec_lo, s7
                                        ; implicit-def: $vgpr4
.LBB4_679:                              ;   in Loop: Header=BB4_417 Depth=2
	s_and_not1_saveexec_b32 s7, s17
; %bb.680:                              ;   in Loop: Header=BB4_417 Depth=2
	v_or_b32_e32 v2, 0x7f, v4
; %bb.681:                              ;   in Loop: Header=BB4_417 Depth=2
	s_or_b32 exec_lo, exec_lo, s7
	v_dual_lshlrev_b32 v3, 16, v40 :: v_dual_lshlrev_b32 v4, 16, v118
	s_delay_alu instid0(VALU_DEP_2) | instskip(SKIP_1) | instid1(VALU_DEP_3)
	v_dual_lshlrev_b32 v5, 24, v41 :: v_dual_lshlrev_b32 v54, 24, v2
	v_cmp_lt_u32_e32 vcc_lo, 7, v57
	v_lshl_or_b32 v2, v43, 8, v3
	s_delay_alu instid0(VALU_DEP_4) | instskip(SKIP_2) | instid1(VALU_DEP_2)
	v_lshl_or_b32 v3, v45, 8, v4
	s_mov_b32 s7, -1
	s_cmp_lg_u32 vcc_lo, exec_lo
	v_or3_b32 v2, v2, v5, v117
	s_delay_alu instid0(VALU_DEP_2)
	v_or3_b32 v3, v3, v54, v44
	s_cbranch_scc0 .LBB4_697
; %bb.682:                              ;   in Loop: Header=BB4_417 Depth=2
	s_mov_b32 s17, exec_lo
	flat_store_b8 v[18:19], v117
	s_wait_xcnt 0x0
	v_cmpx_ne_u32_e32 1, v57
	s_cbranch_execz .LBB4_684
; %bb.683:                              ;   in Loop: Header=BB4_417 Depth=2
	v_lshrrev_b32_e32 v4, 8, v2
	flat_store_b8 v[18:19], v4 offset:1
.LBB4_684:                              ;   in Loop: Header=BB4_417 Depth=2
	s_wait_xcnt 0x0
	s_or_b32 exec_lo, exec_lo, s17
	s_delay_alu instid0(SALU_CYCLE_1)
	s_mov_b32 s17, exec_lo
	v_cmpx_lt_u32_e32 2, v57
	s_cbranch_execz .LBB4_686
; %bb.685:                              ;   in Loop: Header=BB4_417 Depth=2
	flat_store_d16_hi_b8 v[18:19], v2 offset:2
.LBB4_686:                              ;   in Loop: Header=BB4_417 Depth=2
	s_wait_xcnt 0x0
	s_or_b32 exec_lo, exec_lo, s17
	s_delay_alu instid0(SALU_CYCLE_1)
	s_mov_b32 s17, exec_lo
	v_cmpx_lt_u32_e32 3, v57
	s_cbranch_execz .LBB4_688
; %bb.687:                              ;   in Loop: Header=BB4_417 Depth=2
	v_lshrrev_b32_e32 v4, 24, v2
	flat_store_b8 v[18:19], v4 offset:3
.LBB4_688:                              ;   in Loop: Header=BB4_417 Depth=2
	s_wait_xcnt 0x0
	s_or_b32 exec_lo, exec_lo, s17
	s_delay_alu instid0(SALU_CYCLE_1)
	s_mov_b32 s17, exec_lo
	v_cmpx_lt_u32_e32 4, v57
	s_cbranch_execz .LBB4_690
; %bb.689:                              ;   in Loop: Header=BB4_417 Depth=2
	flat_store_b8 v[18:19], v44 offset:4
.LBB4_690:                              ;   in Loop: Header=BB4_417 Depth=2
	s_wait_xcnt 0x0
	s_or_b32 exec_lo, exec_lo, s17
	s_delay_alu instid0(SALU_CYCLE_1)
	s_mov_b32 s17, exec_lo
	v_cmpx_lt_u32_e32 5, v57
	s_cbranch_execz .LBB4_692
; %bb.691:                              ;   in Loop: Header=BB4_417 Depth=2
	v_lshrrev_b32_e32 v4, 8, v3
	flat_store_b8 v[18:19], v4 offset:5
.LBB4_692:                              ;   in Loop: Header=BB4_417 Depth=2
	s_wait_xcnt 0x0
	s_or_b32 exec_lo, exec_lo, s17
	s_delay_alu instid0(SALU_CYCLE_1)
	s_mov_b32 s17, exec_lo
	v_cmpx_lt_u32_e32 6, v57
	s_cbranch_execz .LBB4_694
; %bb.693:                              ;   in Loop: Header=BB4_417 Depth=2
	flat_store_d16_hi_b8 v[18:19], v3 offset:6
.LBB4_694:                              ;   in Loop: Header=BB4_417 Depth=2
	s_wait_xcnt 0x0
	s_or_b32 exec_lo, exec_lo, s17
	s_and_saveexec_b32 s7, vcc_lo
	s_cbranch_execz .LBB4_696
; %bb.695:                              ;   in Loop: Header=BB4_417 Depth=2
	v_lshrrev_b32_e32 v4, 24, v3
	flat_store_b8 v[18:19], v4 offset:7
.LBB4_696:                              ;   in Loop: Header=BB4_417 Depth=2
	s_wait_xcnt 0x0
	s_or_b32 exec_lo, exec_lo, s7
	s_mov_b32 s7, 0
.LBB4_697:                              ;   in Loop: Header=BB4_417 Depth=2
	s_delay_alu instid0(SALU_CYCLE_1)
	s_and_b32 vcc_lo, exec_lo, s7
	s_cbranch_vccz .LBB4_416
; %bb.698:                              ;   in Loop: Header=BB4_417 Depth=2
	global_store_b64 v[18:19], v[2:3], off
	s_branch .LBB4_416
.LBB4_699:                              ;   in Loop: Header=BB4_36 Depth=1
	s_or_b32 exec_lo, exec_lo, s16
	s_delay_alu instid0(SALU_CYCLE_1)
	s_or_b32 exec_lo, exec_lo, s8
	s_and_saveexec_b32 s7, s3
	s_cbranch_execz .LBB4_414
.LBB4_700:                              ;   in Loop: Header=BB4_36 Depth=1
	s_and_saveexec_b32 s8, s4
	s_delay_alu instid0(SALU_CYCLE_1)
	s_xor_b32 s8, exec_lo, s8
	s_cbranch_execz .LBB4_715
; %bb.701:                              ;   in Loop: Header=BB4_36 Depth=1
	s_and_saveexec_b32 s16, s5
	s_cbranch_execz .LBB4_714
; %bb.702:                              ;   in Loop: Header=BB4_36 Depth=1
	s_mov_b32 s18, exec_lo
	s_mov_b32 s17, exec_lo
	v_mbcnt_lo_u32_b32 v2, s18, 0
	global_wb scope:SCOPE_DEV
	s_wait_storecnt 0x0
	s_wait_loadcnt_dscnt 0x0
	global_inv scope:SCOPE_DEV
	v_cmpx_eq_u32_e32 0, v2
	s_cbranch_execz .LBB4_704
; %bb.703:                              ;   in Loop: Header=BB4_36 Depth=1
	s_bcnt1_i32_b32 s18, s18
	s_delay_alu instid0(SALU_CYCLE_1)
	v_mov_b32_e32 v54, s18
	s_wait_loadcnt 0x0
	ds_add_u64 v0, v[54:55]
	s_trap 2
.LBB4_704:                              ;   in Loop: Header=BB4_36 Depth=1
	s_or_b32 exec_lo, exec_lo, s17
	s_trap 2
	ds_load_b64 v[2:3], v0
	s_wait_dscnt 0x0
	v_add_nc_u64_e32 v[52:53], v[52:53], v[84:85]
	s_mov_b32 s17, exec_lo
	s_delay_alu instid0(VALU_DEP_1)
	v_cmpx_lt_u64_e64 v[2:3], v[52:53]
	s_cbranch_execz .LBB4_713
; %bb.705:                              ;   in Loop: Header=BB4_36 Depth=1
	s_mov_b32 s18, 0
	s_mov_b32 s21, 0
                                        ; implicit-def: $sgpr19
                                        ; implicit-def: $sgpr20
	s_branch .LBB4_707
.LBB4_706:                              ;   in Loop: Header=BB4_707 Depth=2
	s_or_b32 exec_lo, exec_lo, s23
	s_delay_alu instid0(SALU_CYCLE_1) | instskip(NEXT) | instid1(SALU_CYCLE_1)
	s_and_b32 s22, exec_lo, s24
	s_or_b32 s18, s22, s18
	s_and_not1_b32 s19, s19, exec_lo
	s_and_b32 s22, s20, exec_lo
	s_delay_alu instid0(SALU_CYCLE_1)
	s_or_b32 s19, s19, s22
	s_and_not1_b32 exec_lo, exec_lo, s18
	s_cbranch_execz .LBB4_711
.LBB4_707:                              ;   Parent Loop BB4_36 Depth=1
                                        ; =>  This Inner Loop Header: Depth=2
	s_add_co_i32 s21, s21, 1
	s_delay_alu instid0(SALU_CYCLE_1) | instskip(SKIP_1) | instid1(SALU_CYCLE_1)
	s_cmp_lg_u32 s21, 0x2710
	s_cselect_b32 s22, -1, 0
	s_and_b32 vcc_lo, exec_lo, s22
	s_cbranch_vccz .LBB4_709
; %bb.708:                              ;   in Loop: Header=BB4_707 Depth=2
	s_mov_b32 s24, -1
	s_or_b32 s20, s20, exec_lo
	s_and_saveexec_b32 s23, s22
	s_cbranch_execz .LBB4_706
	s_branch .LBB4_710
.LBB4_709:                              ;   in Loop: Header=BB4_707 Depth=2
	s_trap 2
	ds_load_b64 v[2:3], v0
	s_and_not1_b32 s22, s22, exec_lo
	s_mov_b32 s21, 0
	s_wait_loadcnt_dscnt 0x0
	flat_load_b32 v2, v[2:3] scope:SCOPE_SYS
	s_wait_loadcnt_dscnt 0x0
	global_inv scope:SCOPE_SYS
	v_cmp_eq_u32_e32 vcc_lo, 0, v2
	s_and_b32 s23, vcc_lo, exec_lo
	s_delay_alu instid0(SALU_CYCLE_1)
	s_or_b32 s22, s22, s23
	s_mov_b32 s24, -1
	s_or_b32 s20, s20, exec_lo
	s_and_saveexec_b32 s23, s22
	s_cbranch_execz .LBB4_706
.LBB4_710:                              ;   in Loop: Header=BB4_707 Depth=2
	s_sleep 1
	s_trap 2
	ds_load_b64 v[2:3], v0
	s_wait_dscnt 0x0
	s_and_not1_b32 s20, s20, exec_lo
	v_cmp_ge_u64_e32 vcc_lo, v[2:3], v[52:53]
	s_or_not1_b32 s24, vcc_lo, exec_lo
	s_branch .LBB4_706
.LBB4_711:                              ;   in Loop: Header=BB4_36 Depth=1
	s_or_b32 exec_lo, exec_lo, s18
	s_and_saveexec_b32 s18, s19
	s_delay_alu instid0(SALU_CYCLE_1)
	s_xor_b32 s18, exec_lo, s18
	s_cbranch_execz .LBB4_713
; %bb.712:                              ;   in Loop: Header=BB4_36 Depth=1
	ds_store_b32 v0, v1
	s_trap 2
.LBB4_713:                              ;   in Loop: Header=BB4_36 Depth=1
	s_or_b32 exec_lo, exec_lo, s17
	;;#ASMSTART
	s_wakeup
	;;#ASMEND
.LBB4_714:                              ;   in Loop: Header=BB4_36 Depth=1
	s_or_b32 exec_lo, exec_lo, s16
.LBB4_715:                              ;   in Loop: Header=BB4_36 Depth=1
	s_and_not1_saveexec_b32 s8, s8
	s_cbranch_execz .LBB4_717
; %bb.716:                              ;   in Loop: Header=BB4_36 Depth=1
	global_wb scope:SCOPE_DEV
	s_wait_storecnt 0x0
	s_wait_loadcnt_dscnt 0x0
	global_inv scope:SCOPE_DEV
	s_barrier_signal -1
	s_barrier_wait -1
.LBB4_717:                              ;   in Loop: Header=BB4_36 Depth=1
	s_or_b32 exec_lo, exec_lo, s8
	s_delay_alu instid0(SALU_CYCLE_1)
	s_or_b32 exec_lo, exec_lo, s7
	s_and_saveexec_b32 s7, s6
	s_cbranch_execz .LBB4_35
.LBB4_718:                              ;   in Loop: Header=BB4_36 Depth=1
	v_add_nc_u64_e32 v[38:39], 1, v[38:39]
	global_wb scope:SCOPE_SYS
	s_wait_storecnt 0x0
	s_wait_loadcnt_dscnt 0x0
	flat_store_b64 v[48:49], v[38:39] scope:SCOPE_SYS
	s_branch .LBB4_35
.LBB4_719:
	s_or_b32 exec_lo, exec_lo, s14
	s_delay_alu instid0(SALU_CYCLE_1)
	s_or_b32 exec_lo, exec_lo, s12
	s_and_saveexec_b32 s1, s9
	s_cbranch_execz .LBB4_20
.LBB4_720:
	s_wait_dscnt 0x0
	flat_store_b64 v[28:29], v[38:39] offset:104
	s_wait_xcnt 0x0
	s_or_b32 exec_lo, exec_lo, s1
	s_and_saveexec_b32 s1, s0
	s_cbranch_execnz .LBB4_21
	s_branch .LBB4_22
.LBB4_721:
	s_or_b32 exec_lo, exec_lo, s4
	s_and_saveexec_b32 s4, s5
	s_delay_alu instid0(SALU_CYCLE_1)
	s_xor_b32 s4, exec_lo, s4
	s_cbranch_execz .LBB4_723
; %bb.722:
	v_mov_b32_e32 v0, 1
	ds_store_b32 v0, v0
	s_trap 2
.LBB4_723:
	s_or_b32 exec_lo, exec_lo, s3
	;;#ASMSTART
	s_wakeup
	;;#ASMEND
.LBB4_724:
	s_or_b32 exec_lo, exec_lo, s2
.LBB4_725:
	s_and_not1_saveexec_b32 s1, s1
	s_cbranch_execz .LBB4_727
; %bb.726:
	global_wb scope:SCOPE_DEV
	s_wait_storecnt 0x0
	s_wait_loadcnt_dscnt 0x0
	global_inv scope:SCOPE_DEV
	s_barrier_signal -1
	s_barrier_wait -1
.LBB4_727:
	s_or_b32 exec_lo, exec_lo, s0
	s_clause 0x17
	scratch_load_b32 v79, off, s32
	scratch_load_b32 v78, off, s32 offset:4
	scratch_load_b32 v77, off, s32 offset:8
	;; [unrolled: 1-line block ×23, first 2 shown]
	s_wait_loadcnt_dscnt 0x0
	s_set_pc_i64 s[30:31]
.Lfunc_end4:
	.size	_ZN12_GLOBAL__N_17runRingI14__hip_fp8_e4m37FuncSumIS1_E7ProtoLLLi0ELi4ELi0EEEviiP15ncclDevWorkColl, .Lfunc_end4-_ZN12_GLOBAL__N_17runRingI14__hip_fp8_e4m37FuncSumIS1_E7ProtoLLLi0ELi4ELi0EEEviiP15ncclDevWorkColl
                                        ; -- End function
	.set .L_ZN12_GLOBAL__N_17runRingI14__hip_fp8_e4m37FuncSumIS1_E7ProtoLLLi0ELi4ELi0EEEviiP15ncclDevWorkColl.num_vgpr, 120
	.set .L_ZN12_GLOBAL__N_17runRingI14__hip_fp8_e4m37FuncSumIS1_E7ProtoLLLi0ELi4ELi0EEEviiP15ncclDevWorkColl.num_agpr, 0
	.set .L_ZN12_GLOBAL__N_17runRingI14__hip_fp8_e4m37FuncSumIS1_E7ProtoLLLi0ELi4ELi0EEEviiP15ncclDevWorkColl.numbered_sgpr, 33
	.set .L_ZN12_GLOBAL__N_17runRingI14__hip_fp8_e4m37FuncSumIS1_E7ProtoLLLi0ELi4ELi0EEEviiP15ncclDevWorkColl.num_named_barrier, 0
	.set .L_ZN12_GLOBAL__N_17runRingI14__hip_fp8_e4m37FuncSumIS1_E7ProtoLLLi0ELi4ELi0EEEviiP15ncclDevWorkColl.private_seg_size, 100
	.set .L_ZN12_GLOBAL__N_17runRingI14__hip_fp8_e4m37FuncSumIS1_E7ProtoLLLi0ELi4ELi0EEEviiP15ncclDevWorkColl.uses_vcc, 1
	.set .L_ZN12_GLOBAL__N_17runRingI14__hip_fp8_e4m37FuncSumIS1_E7ProtoLLLi0ELi4ELi0EEEviiP15ncclDevWorkColl.uses_flat_scratch, 1
	.set .L_ZN12_GLOBAL__N_17runRingI14__hip_fp8_e4m37FuncSumIS1_E7ProtoLLLi0ELi4ELi0EEEviiP15ncclDevWorkColl.has_dyn_sized_stack, 0
	.set .L_ZN12_GLOBAL__N_17runRingI14__hip_fp8_e4m37FuncSumIS1_E7ProtoLLLi0ELi4ELi0EEEviiP15ncclDevWorkColl.has_recursion, 0
	.set .L_ZN12_GLOBAL__N_17runRingI14__hip_fp8_e4m37FuncSumIS1_E7ProtoLLLi0ELi4ELi0EEEviiP15ncclDevWorkColl.has_indirect_call, 0
	.section	.AMDGPU.csdata,"",@progbits
; Function info:
; codeLenInByte = 24276
; TotalNumSgprs: 35
; NumVgprs: 120
; ScratchSize: 100
; MemoryBound: 0
	.text
	.p2align	2                               ; -- Begin function _Z50ncclDevFunc_ReduceScatter_RING_LL_Sum_f8e4m3_0_0_4v
	.type	_Z50ncclDevFunc_ReduceScatter_RING_LL_Sum_f8e4m3_0_0_4v,@function
_Z50ncclDevFunc_ReduceScatter_RING_LL_Sum_f8e4m3_0_0_4v: ; @_Z50ncclDevFunc_ReduceScatter_RING_LL_Sum_f8e4m3_0_0_4v
; %bb.0:
	s_wait_loadcnt_dscnt 0x0
	s_wait_kmcnt 0x0
	s_mov_b32 s46, s33
	s_mov_b32 s33, s32
	s_or_saveexec_b32 s0, -1
	scratch_store_b32 off, v41, s33 offset:4 ; 4-byte Folded Spill
	s_wait_xcnt 0x0
	s_mov_b32 exec_lo, s0
	s_add_co_i32 s32, s32, 16
	scratch_store_b32 off, v40, s33         ; 4-byte Folded Spill
	v_writelane_b32 v41, s30, 0
	v_writelane_b32 v41, s31, 1
	s_trap 2
	ds_load_b32 v0, v0
	s_wait_dscnt 0x0
	v_cmp_gt_i32_e32 vcc_lo, 1, v0
	s_cbranch_vccnz .LBB5_8
; %bb.1:
	s_wait_xcnt 0x0
	v_and_b32_e32 v40, 0x3ff, v31
	s_mov_b32 s29, s12
	s_mov_b64 s[40:41], s[8:9]
	s_mov_b32 s44, 0
	s_get_pc_i64 s[42:43]
	s_add_nc_u64 s[42:43], s[42:43], _ZN12_GLOBAL__N_17runRingI14__hip_fp8_e4m37FuncSumIS1_E7ProtoLLLi0ELi4ELi0EEEviiP15ncclDevWorkColl@rel64+4
	s_branch .LBB5_3
.LBB5_2:                                ;   in Loop: Header=BB5_3 Depth=1
	s_or_b32 exec_lo, exec_lo, s45
	s_trap 2
	ds_load_b32 v0, v0
	s_add_co_i32 s44, s44, 1
	s_wait_dscnt 0x0
	v_cmp_lt_i32_e32 vcc_lo, s44, v0
	s_cbranch_vccz .LBB5_8
.LBB5_3:                                ; =>This Inner Loop Header: Depth=1
	s_trap 2
	ds_load_b32 v0, v0
	s_cmp_eq_u32 s44, 0
	s_cbranch_scc1 .LBB5_6
; %bb.4:                                ;   in Loop: Header=BB5_3 Depth=1
	s_trap 2
	s_wait_dscnt 0x0
	ds_load_b32 v1, v0
	s_wait_dscnt 0x0
	v_xor_b32_e32 v1, v1, v0
	s_delay_alu instid0(VALU_DEP_1) | instskip(NEXT) | instid1(VALU_DEP_1)
	v_and_b32_e32 v1, 0xff0000, v1
	v_cmp_eq_u32_e32 vcc_lo, 0, v1
	s_cbranch_vccnz .LBB5_6
; %bb.5:                                ;   in Loop: Header=BB5_3 Depth=1
	s_wait_storecnt 0x0
	s_barrier_signal -1
	s_barrier_wait -1
	ds_load_b32 v0, v0
.LBB5_6:                                ;   in Loop: Header=BB5_3 Depth=1
	s_wait_dscnt 0x0
	v_lshrrev_b32_e32 v0, 11, v0
	s_mov_b32 s45, exec_lo
	s_delay_alu instid0(VALU_DEP_1) | instskip(NEXT) | instid1(VALU_DEP_1)
	v_and_b32_e32 v1, 0x1fe0, v0
	v_cmpx_lt_u32_e64 v40, v1
	s_cbranch_execz .LBB5_2
; %bb.7:                                ;   in Loop: Header=BB5_3 Depth=1
	s_mov_b64 s[0:1], src_shared_base
	s_delay_alu instid0(SALU_CYCLE_1)
	v_dual_mov_b32 v0, v40 :: v_dual_mov_b32 v3, s1
	s_mov_b64 s[8:9], s[40:41]
	s_mov_b32 s12, s29
	s_swap_pc_i64 s[30:31], s[42:43]
	s_branch .LBB5_2
.LBB5_8:
	scratch_load_b32 v40, off, s33          ; 4-byte Folded Reload
	v_readlane_b32 s30, v41, 0
	v_readlane_b32 s31, v41, 1
	s_mov_b32 s32, s33
	s_wait_xcnt 0x0
	s_or_saveexec_b32 s0, -1
	scratch_load_b32 v41, off, s33 offset:4 ; 4-byte Folded Reload
	s_wait_xcnt 0x0
	s_mov_b32 exec_lo, s0
	s_mov_b32 s33, s46
	s_wait_loadcnt 0x0
	s_set_pc_i64 s[30:31]
.Lfunc_end5:
	.size	_Z50ncclDevFunc_ReduceScatter_RING_LL_Sum_f8e4m3_0_0_4v, .Lfunc_end5-_Z50ncclDevFunc_ReduceScatter_RING_LL_Sum_f8e4m3_0_0_4v
                                        ; -- End function
	.set .L_Z50ncclDevFunc_ReduceScatter_RING_LL_Sum_f8e4m3_0_0_4v.num_vgpr, max(42, .L_ZN12_GLOBAL__N_17runRingI14__hip_fp8_e4m37FuncSumIS1_E7ProtoLLLi0ELi4ELi0EEEviiP15ncclDevWorkColl.num_vgpr)
	.set .L_Z50ncclDevFunc_ReduceScatter_RING_LL_Sum_f8e4m3_0_0_4v.num_agpr, max(0, .L_ZN12_GLOBAL__N_17runRingI14__hip_fp8_e4m37FuncSumIS1_E7ProtoLLLi0ELi4ELi0EEEviiP15ncclDevWorkColl.num_agpr)
	.set .L_Z50ncclDevFunc_ReduceScatter_RING_LL_Sum_f8e4m3_0_0_4v.numbered_sgpr, max(47, .L_ZN12_GLOBAL__N_17runRingI14__hip_fp8_e4m37FuncSumIS1_E7ProtoLLLi0ELi4ELi0EEEviiP15ncclDevWorkColl.numbered_sgpr)
	.set .L_Z50ncclDevFunc_ReduceScatter_RING_LL_Sum_f8e4m3_0_0_4v.num_named_barrier, max(0, .L_ZN12_GLOBAL__N_17runRingI14__hip_fp8_e4m37FuncSumIS1_E7ProtoLLLi0ELi4ELi0EEEviiP15ncclDevWorkColl.num_named_barrier)
	.set .L_Z50ncclDevFunc_ReduceScatter_RING_LL_Sum_f8e4m3_0_0_4v.private_seg_size, 16+max(.L_ZN12_GLOBAL__N_17runRingI14__hip_fp8_e4m37FuncSumIS1_E7ProtoLLLi0ELi4ELi0EEEviiP15ncclDevWorkColl.private_seg_size)
	.set .L_Z50ncclDevFunc_ReduceScatter_RING_LL_Sum_f8e4m3_0_0_4v.uses_vcc, or(1, .L_ZN12_GLOBAL__N_17runRingI14__hip_fp8_e4m37FuncSumIS1_E7ProtoLLLi0ELi4ELi0EEEviiP15ncclDevWorkColl.uses_vcc)
	.set .L_Z50ncclDevFunc_ReduceScatter_RING_LL_Sum_f8e4m3_0_0_4v.uses_flat_scratch, or(0, .L_ZN12_GLOBAL__N_17runRingI14__hip_fp8_e4m37FuncSumIS1_E7ProtoLLLi0ELi4ELi0EEEviiP15ncclDevWorkColl.uses_flat_scratch)
	.set .L_Z50ncclDevFunc_ReduceScatter_RING_LL_Sum_f8e4m3_0_0_4v.has_dyn_sized_stack, or(0, .L_ZN12_GLOBAL__N_17runRingI14__hip_fp8_e4m37FuncSumIS1_E7ProtoLLLi0ELi4ELi0EEEviiP15ncclDevWorkColl.has_dyn_sized_stack)
	.set .L_Z50ncclDevFunc_ReduceScatter_RING_LL_Sum_f8e4m3_0_0_4v.has_recursion, or(1, .L_ZN12_GLOBAL__N_17runRingI14__hip_fp8_e4m37FuncSumIS1_E7ProtoLLLi0ELi4ELi0EEEviiP15ncclDevWorkColl.has_recursion)
	.set .L_Z50ncclDevFunc_ReduceScatter_RING_LL_Sum_f8e4m3_0_0_4v.has_indirect_call, or(0, .L_ZN12_GLOBAL__N_17runRingI14__hip_fp8_e4m37FuncSumIS1_E7ProtoLLLi0ELi4ELi0EEEviiP15ncclDevWorkColl.has_indirect_call)
	.section	.AMDGPU.csdata,"",@progbits
; Function info:
; codeLenInByte = 396
; TotalNumSgprs: 49
; NumVgprs: 120
; ScratchSize: 116
; MemoryBound: 0
	.text
	.p2alignl 7, 3214868480
	.fill 96, 4, 3214868480
	.section	.AMDGPU.gpr_maximums,"",@progbits
	.set amdgpu.max_num_vgpr, 120
	.set amdgpu.max_num_agpr, 0
	.set amdgpu.max_num_sgpr, 47
	.text
	.type	__hip_cuid_46ad1375475378b3,@object ; @__hip_cuid_46ad1375475378b3
	.section	.bss,"aw",@nobits
	.globl	__hip_cuid_46ad1375475378b3
__hip_cuid_46ad1375475378b3:
	.byte	0                               ; 0x0
	.size	__hip_cuid_46ad1375475378b3, 1

	.ident	"AMD clang version 22.0.0git (https://github.com/RadeonOpenCompute/llvm-project roc-7.2.4 26084 f58b06dce1f9c15707c5f808fd002e18c2accf7e)"
	.section	".note.GNU-stack","",@progbits
	.addrsig
	.addrsig_sym _Z50ncclDevFunc_ReduceScatter_RING_LL_Sum_f8e4m3_0_0_1v
	.addrsig_sym _Z50ncclDevFunc_ReduceScatter_RING_LL_Sum_f8e4m3_0_0_2v
	.addrsig_sym _Z50ncclDevFunc_ReduceScatter_RING_LL_Sum_f8e4m3_0_0_4v
	.addrsig_sym ncclShmem
	.addrsig_sym __hip_cuid_46ad1375475378b3
	.amdgpu_metadata
---
amdhsa.kernels:  []
amdhsa.target:   amdgcn-amd-amdhsa--gfx1250
amdhsa.version:
  - 1
  - 2
...

	.end_amdgpu_metadata
